;; amdgpu-corpus repo=pytorch/pytorch kind=compiled arch=gfx90a opt=O3
	.text
	.amdgcn_target "amdgcn-amd-amdhsa--gfx90a"
	.amdhsa_code_object_version 6
	.section	.text._ZN2at6native12_GLOBAL__N_125multi_tensor_apply_kernelINS1_18TensorListMetadataILi1EEENS1_27BinaryOpScalarTensorFunctorIhLi1ELi1ELi0EEEJSt4plusIhEPhhEEEvT_T0_DpT1_,"axG",@progbits,_ZN2at6native12_GLOBAL__N_125multi_tensor_apply_kernelINS1_18TensorListMetadataILi1EEENS1_27BinaryOpScalarTensorFunctorIhLi1ELi1ELi0EEEJSt4plusIhEPhhEEEvT_T0_DpT1_,comdat
	.globl	_ZN2at6native12_GLOBAL__N_125multi_tensor_apply_kernelINS1_18TensorListMetadataILi1EEENS1_27BinaryOpScalarTensorFunctorIhLi1ELi1ELi0EEEJSt4plusIhEPhhEEEvT_T0_DpT1_ ; -- Begin function _ZN2at6native12_GLOBAL__N_125multi_tensor_apply_kernelINS1_18TensorListMetadataILi1EEENS1_27BinaryOpScalarTensorFunctorIhLi1ELi1ELi0EEEJSt4plusIhEPhhEEEvT_T0_DpT1_
	.p2align	8
	.type	_ZN2at6native12_GLOBAL__N_125multi_tensor_apply_kernelINS1_18TensorListMetadataILi1EEENS1_27BinaryOpScalarTensorFunctorIhLi1ELi1ELi0EEEJSt4plusIhEPhhEEEvT_T0_DpT1_,@function
_ZN2at6native12_GLOBAL__N_125multi_tensor_apply_kernelINS1_18TensorListMetadataILi1EEENS1_27BinaryOpScalarTensorFunctorIhLi1ELi1ELi0EEEJSt4plusIhEPhhEEEvT_T0_DpT1_: ; @_ZN2at6native12_GLOBAL__N_125multi_tensor_apply_kernelINS1_18TensorListMetadataILi1EEENS1_27BinaryOpScalarTensorFunctorIhLi1ELi1ELi0EEEJSt4plusIhEPhhEEEvT_T0_DpT1_
; %bb.0:
	v_mov_b32_e32 v1, s6
	global_load_ubyte v1, v1, s[4:5] offset:1760
	s_add_u32 s0, s4, s6
	s_mul_hi_u32 s1, s6, 3
	s_mul_i32 s6, s6, 3
	s_addc_u32 s2, s5, 0
	s_add_u32 s0, s0, s6
	s_addc_u32 s1, s2, s1
	s_load_dword s2, s[0:1], 0x820
	s_load_dword s21, s[4:5], 0xd38
	s_waitcnt vmcnt(0)
	v_readfirstlane_b32 s0, v1
	s_lshl_b32 s3, s0, 3
	s_load_dwordx2 s[0:1], s[4:5], s3 offset:0x0
	s_load_dwordx2 s[10:11], s[4:5], 0xd30
	s_load_dwordx2 s[6:7], s[4:5], s3 offset:0x370
	s_waitcnt lgkmcnt(0)
	s_ashr_i32 s3, s2, 31
	s_lshl_b64 s[2:3], s[2:3], 16
	s_add_u32 s20, s0, s2
	s_addc_u32 s22, s1, s3
	s_sub_u32 s12, s6, s2
	s_subb_u32 s13, s7, s3
	s_or_b32 s6, s6, s20
	s_and_b32 s6, s6, 3
	s_cmp_eq_u32 s6, 0
	s_cbranch_scc1 .LBB0_21
; %bb.1:
	v_cmp_lt_i64_e64 s[6:7], s[12:13], 1
	s_and_b64 vcc, exec, s[6:7]
	s_cbranch_vccnz .LBB0_20
; %bb.2:
	s_load_dword s6, s[4:5], 0xd4c
	v_mov_b32_e32 v2, 0x10000
	v_mov_b32_e32 v3, 0
	v_cmp_lt_u64_e32 vcc, s[12:13], v[2:3]
	v_mov_b32_e32 v4, s3
	s_waitcnt lgkmcnt(0)
	s_and_b32 s8, s6, 0xffff
	s_and_b64 s[6:7], vcc, exec
	s_cselect_b32 s15, s13, 0
	s_cselect_b32 s14, s12, 0x10000
	s_lshl_b32 s9, s8, 1
	s_mul_i32 s6, s8, 3
	s_lshl_b32 s23, s8, 2
	s_and_b32 s24, s21, 0xff
	s_add_u32 s7, s2, s6
	v_add_co_u32_e32 v5, vcc, s2, v0
	s_addc_u32 s16, s3, 0
	v_addc_co_u32_e32 v4, vcc, 0, v4, vcc
	s_add_u32 s7, s0, s7
	v_mov_b32_e32 v7, s1
	v_add_co_u32_e32 v6, vcc, s0, v5
	s_addc_u32 s16, s1, s16
	v_addc_co_u32_e32 v7, vcc, v7, v4, vcc
	s_add_u32 s2, s2, s9
	v_mov_b32_e32 v9, s16
	v_add_co_u32_e32 v8, vcc, s7, v0
	s_addc_u32 s3, s3, 0
	v_addc_co_u32_e32 v9, vcc, 0, v9, vcc
	s_add_u32 s2, s0, s2
	v_add_co_u32_e32 v10, vcc, s6, v0
	s_addc_u32 s3, s1, s3
	v_addc_co_u32_e64 v11, s[6:7], 0, 0, vcc
	v_mov_b32_e32 v13, s3
	v_add_co_u32_e32 v12, vcc, s2, v0
	v_addc_co_u32_e32 v13, vcc, 0, v13, vcc
	s_add_u32 s0, s0, s8
	v_add_co_u32_e32 v14, vcc, s9, v0
	s_addc_u32 s1, s1, 0
	v_addc_co_u32_e64 v15, s[2:3], 0, 0, vcc
	v_mov_b32_e32 v17, s1
	v_add_co_u32_e32 v16, vcc, s0, v5
	v_addc_co_u32_e32 v17, vcc, v17, v4, vcc
	v_add_co_u32_e32 v18, vcc, s8, v0
	v_mov_b32_e32 v1, 0
	v_addc_co_u32_e64 v19, s[0:1], 0, 0, vcc
	s_mov_b64 s[16:17], 0
	v_pk_mov_b32 v[4:5], s[12:13], s[12:13] op_sel:[0,1]
	s_branch .LBB0_4
.LBB0_3:                                ;   in Loop: Header=BB0_4 Depth=1
	s_or_b64 exec, exec, s[0:1]
	s_add_u32 s16, s16, s23
	s_addc_u32 s17, s17, 0
	v_cmp_lt_i64_e32 vcc, s[16:17], v[4:5]
	v_cmp_lt_u64_e64 s[0:1], s[16:17], v[2:3]
	s_and_b64 s[0:1], vcc, s[0:1]
	s_and_b64 vcc, exec, s[0:1]
	s_cbranch_vccz .LBB0_20
.LBB0_4:                                ; =>This Inner Loop Header: Depth=1
	v_mov_b32_e32 v21, s17
	v_add_co_u32_e32 v20, vcc, s16, v0
	v_addc_co_u32_e32 v21, vcc, 0, v21, vcc
	v_cmp_gt_u64_e32 vcc, s[14:15], v[20:21]
	v_mov_b32_e32 v21, 0
	s_and_saveexec_b64 s[2:3], vcc
	s_cbranch_execz .LBB0_6
; %bb.5:                                ;   in Loop: Header=BB0_4 Depth=1
	v_mov_b32_e32 v21, s17
	v_add_co_u32_e64 v20, s[0:1], s16, v6
	v_addc_co_u32_e64 v21, s[0:1], v7, v21, s[0:1]
	global_load_ubyte v21, v[20:21], off
.LBB0_6:                                ;   in Loop: Header=BB0_4 Depth=1
	s_or_b64 exec, exec, s[2:3]
	v_mov_b32_e32 v20, s17
	v_add_co_u32_e64 v22, s[0:1], s16, v18
	v_addc_co_u32_e64 v23, s[0:1], v19, v20, s[0:1]
	v_cmp_gt_u64_e64 s[0:1], s[14:15], v[22:23]
	v_mov_b32_e32 v20, 0
	v_mov_b32_e32 v22, 0
	s_and_saveexec_b64 s[6:7], s[0:1]
	s_cbranch_execz .LBB0_8
; %bb.7:                                ;   in Loop: Header=BB0_4 Depth=1
	v_mov_b32_e32 v23, s17
	v_add_co_u32_e64 v22, s[2:3], s16, v16
	v_addc_co_u32_e64 v23, s[2:3], v17, v23, s[2:3]
	global_load_ubyte v22, v[22:23], off
.LBB0_8:                                ;   in Loop: Header=BB0_4 Depth=1
	s_or_b64 exec, exec, s[6:7]
	v_mov_b32_e32 v23, s17
	v_add_co_u32_e64 v24, s[2:3], s16, v14
	v_addc_co_u32_e64 v25, s[2:3], v15, v23, s[2:3]
	v_cmp_gt_u64_e64 s[2:3], s[14:15], v[24:25]
	s_and_saveexec_b64 s[8:9], s[2:3]
	s_cbranch_execz .LBB0_10
; %bb.9:                                ;   in Loop: Header=BB0_4 Depth=1
	v_mov_b32_e32 v20, s17
	v_add_co_u32_e64 v24, s[6:7], s16, v12
	v_addc_co_u32_e64 v25, s[6:7], v13, v20, s[6:7]
	global_load_ubyte v20, v[24:25], off
.LBB0_10:                               ;   in Loop: Header=BB0_4 Depth=1
	s_or_b64 exec, exec, s[8:9]
	v_mov_b32_e32 v23, s17
	v_add_co_u32_e64 v24, s[6:7], s16, v10
	v_addc_co_u32_e64 v25, s[6:7], v11, v23, s[6:7]
	v_cmp_gt_u64_e64 s[6:7], s[14:15], v[24:25]
	v_mov_b32_e32 v23, 0
	s_and_saveexec_b64 s[18:19], s[6:7]
	s_cbranch_execz .LBB0_12
; %bb.11:                               ;   in Loop: Header=BB0_4 Depth=1
	v_mov_b32_e32 v23, s17
	v_add_co_u32_e64 v24, s[8:9], s16, v8
	v_addc_co_u32_e64 v25, s[8:9], v9, v23, s[8:9]
	global_load_ubyte v23, v[24:25], off
.LBB0_12:                               ;   in Loop: Header=BB0_4 Depth=1
	s_or_b64 exec, exec, s[18:19]
	global_load_ubyte v24, v1, s[10:11]
	s_waitcnt vmcnt(0)
	v_mul_lo_u32 v24, v24, s24
	s_and_saveexec_b64 s[8:9], vcc
	s_cbranch_execnz .LBB0_16
; %bb.13:                               ;   in Loop: Header=BB0_4 Depth=1
	s_or_b64 exec, exec, s[8:9]
	s_and_saveexec_b64 s[8:9], s[0:1]
	s_cbranch_execnz .LBB0_17
.LBB0_14:                               ;   in Loop: Header=BB0_4 Depth=1
	s_or_b64 exec, exec, s[8:9]
	s_and_saveexec_b64 s[0:1], s[2:3]
	s_cbranch_execnz .LBB0_18
.LBB0_15:                               ;   in Loop: Header=BB0_4 Depth=1
	s_or_b64 exec, exec, s[0:1]
	s_and_saveexec_b64 s[0:1], s[6:7]
	s_cbranch_execz .LBB0_3
	s_branch .LBB0_19
.LBB0_16:                               ;   in Loop: Header=BB0_4 Depth=1
	v_mov_b32_e32 v25, s17
	v_add_co_u32_e32 v26, vcc, s16, v6
	v_addc_co_u32_e32 v27, vcc, v7, v25, vcc
	v_add_u16_e32 v21, v24, v21
	global_store_byte v[26:27], v21, off
	s_or_b64 exec, exec, s[8:9]
	s_and_saveexec_b64 s[8:9], s[0:1]
	s_cbranch_execz .LBB0_14
.LBB0_17:                               ;   in Loop: Header=BB0_4 Depth=1
	v_add_u16_e32 v21, v24, v22
	v_mov_b32_e32 v22, s17
	v_add_co_u32_e32 v26, vcc, s16, v16
	v_addc_co_u32_e32 v27, vcc, v17, v22, vcc
	global_store_byte v[26:27], v21, off
	s_or_b64 exec, exec, s[8:9]
	s_and_saveexec_b64 s[0:1], s[2:3]
	s_cbranch_execz .LBB0_15
.LBB0_18:                               ;   in Loop: Header=BB0_4 Depth=1
	v_add_u16_e32 v22, v24, v20
	v_mov_b32_e32 v21, s17
	v_add_co_u32_e32 v20, vcc, s16, v12
	v_addc_co_u32_e32 v21, vcc, v13, v21, vcc
	global_store_byte v[20:21], v22, off
	s_or_b64 exec, exec, s[0:1]
	s_and_saveexec_b64 s[0:1], s[6:7]
	s_cbranch_execz .LBB0_3
.LBB0_19:                               ;   in Loop: Header=BB0_4 Depth=1
	v_mov_b32_e32 v21, s17
	v_add_co_u32_e32 v20, vcc, s16, v8
	v_add_u16_e32 v22, v24, v23
	v_addc_co_u32_e32 v21, vcc, v9, v21, vcc
	global_store_byte v[20:21], v22, off
	s_branch .LBB0_3
.LBB0_20:
	s_cbranch_execz .LBB0_22
	s_branch .LBB0_25
.LBB0_21:
.LBB0_22:
	v_lshlrev_b32_e32 v0, 2, v0
	v_mov_b32_e32 v1, 0
	v_cmp_gt_i64_e32 vcc, s[12:13], v[0:1]
	s_and_saveexec_b64 s[0:1], vcc
	s_cbranch_execz .LBB0_25
; %bb.23:
	s_load_dword s0, s[4:5], 0xd4c
	s_mov_b32 s1, 0
	s_and_b32 s6, s21, 0xff
	s_mov_b64 s[2:3], 0
	v_mov_b32_e32 v4, s22
	s_waitcnt lgkmcnt(0)
	s_and_b32 s0, s0, 0xffff
	s_lshl_b32 s7, s0, 2
	v_mov_b32_e32 v5, s1
	s_mov_b64 s[4:5], 0xffff
	v_mov_b32_e32 v6, 8
	v_pk_mov_b32 v[2:3], v[0:1], v[0:1] op_sel:[0,1]
.LBB0_24:                               ; =>This Inner Loop Header: Depth=1
	v_add_co_u32_e32 v8, vcc, s20, v2
	v_addc_co_u32_e32 v9, vcc, v4, v3, vcc
	global_load_ubyte v0, v1, s[10:11]
	global_load_dword v7, v[8:9], off
	v_add_co_u32_e32 v2, vcc, s7, v2
	v_addc_co_u32_e32 v3, vcc, v5, v3, vcc
	v_cmp_le_i64_e32 vcc, s[12:13], v[2:3]
	v_cmp_lt_u64_e64 s[0:1], s[4:5], v[2:3]
	s_or_b64 s[0:1], vcc, s[0:1]
	s_and_b64 s[0:1], exec, s[0:1]
	s_or_b64 s[2:3], s[0:1], s[2:3]
	s_waitcnt vmcnt(1)
	v_mul_lo_u32 v0, v0, s6
	s_waitcnt vmcnt(0)
	v_lshrrev_b32_e32 v10, 8, v7
	v_add_u16_sdwa v12, v0, v7 dst_sel:DWORD dst_unused:UNUSED_PAD src0_sel:DWORD src1_sel:WORD_1
	v_add_u16_e32 v11, v0, v7
	v_add_u16_sdwa v7, v0, v7 dst_sel:DWORD dst_unused:UNUSED_PAD src0_sel:DWORD src1_sel:BYTE_3
	v_add_u16_e32 v0, v0, v10
	v_and_b32_e32 v10, 0xff, v12
	v_lshlrev_b32_e32 v10, 16, v10
	v_and_b32_e32 v11, 0xff, v11
	v_lshlrev_b32_sdwa v0, v6, v0 dst_sel:DWORD dst_unused:UNUSED_PAD src0_sel:DWORD src1_sel:BYTE_0
	v_lshl_or_b32 v7, v7, 24, v10
	v_or3_b32 v0, v7, v0, v11
	global_store_dword v[8:9], v0, off
	s_andn2_b64 exec, exec, s[2:3]
	s_cbranch_execnz .LBB0_24
.LBB0_25:
	s_endpgm
	.section	.rodata,"a",@progbits
	.p2align	6, 0x0
	.amdhsa_kernel _ZN2at6native12_GLOBAL__N_125multi_tensor_apply_kernelINS1_18TensorListMetadataILi1EEENS1_27BinaryOpScalarTensorFunctorIhLi1ELi1ELi0EEEJSt4plusIhEPhhEEEvT_T0_DpT1_
		.amdhsa_group_segment_fixed_size 0
		.amdhsa_private_segment_fixed_size 0
		.amdhsa_kernarg_size 3648
		.amdhsa_user_sgpr_count 6
		.amdhsa_user_sgpr_private_segment_buffer 1
		.amdhsa_user_sgpr_dispatch_ptr 0
		.amdhsa_user_sgpr_queue_ptr 0
		.amdhsa_user_sgpr_kernarg_segment_ptr 1
		.amdhsa_user_sgpr_dispatch_id 0
		.amdhsa_user_sgpr_flat_scratch_init 0
		.amdhsa_user_sgpr_kernarg_preload_length 0
		.amdhsa_user_sgpr_kernarg_preload_offset 0
		.amdhsa_user_sgpr_private_segment_size 0
		.amdhsa_uses_dynamic_stack 0
		.amdhsa_system_sgpr_private_segment_wavefront_offset 0
		.amdhsa_system_sgpr_workgroup_id_x 1
		.amdhsa_system_sgpr_workgroup_id_y 0
		.amdhsa_system_sgpr_workgroup_id_z 0
		.amdhsa_system_sgpr_workgroup_info 0
		.amdhsa_system_vgpr_workitem_id 0
		.amdhsa_next_free_vgpr 28
		.amdhsa_next_free_sgpr 25
		.amdhsa_accum_offset 28
		.amdhsa_reserve_vcc 1
		.amdhsa_reserve_flat_scratch 0
		.amdhsa_float_round_mode_32 0
		.amdhsa_float_round_mode_16_64 0
		.amdhsa_float_denorm_mode_32 3
		.amdhsa_float_denorm_mode_16_64 3
		.amdhsa_dx10_clamp 1
		.amdhsa_ieee_mode 1
		.amdhsa_fp16_overflow 0
		.amdhsa_tg_split 0
		.amdhsa_exception_fp_ieee_invalid_op 0
		.amdhsa_exception_fp_denorm_src 0
		.amdhsa_exception_fp_ieee_div_zero 0
		.amdhsa_exception_fp_ieee_overflow 0
		.amdhsa_exception_fp_ieee_underflow 0
		.amdhsa_exception_fp_ieee_inexact 0
		.amdhsa_exception_int_div_zero 0
	.end_amdhsa_kernel
	.section	.text._ZN2at6native12_GLOBAL__N_125multi_tensor_apply_kernelINS1_18TensorListMetadataILi1EEENS1_27BinaryOpScalarTensorFunctorIhLi1ELi1ELi0EEEJSt4plusIhEPhhEEEvT_T0_DpT1_,"axG",@progbits,_ZN2at6native12_GLOBAL__N_125multi_tensor_apply_kernelINS1_18TensorListMetadataILi1EEENS1_27BinaryOpScalarTensorFunctorIhLi1ELi1ELi0EEEJSt4plusIhEPhhEEEvT_T0_DpT1_,comdat
.Lfunc_end0:
	.size	_ZN2at6native12_GLOBAL__N_125multi_tensor_apply_kernelINS1_18TensorListMetadataILi1EEENS1_27BinaryOpScalarTensorFunctorIhLi1ELi1ELi0EEEJSt4plusIhEPhhEEEvT_T0_DpT1_, .Lfunc_end0-_ZN2at6native12_GLOBAL__N_125multi_tensor_apply_kernelINS1_18TensorListMetadataILi1EEENS1_27BinaryOpScalarTensorFunctorIhLi1ELi1ELi0EEEJSt4plusIhEPhhEEEvT_T0_DpT1_
                                        ; -- End function
	.section	.AMDGPU.csdata,"",@progbits
; Kernel info:
; codeLenInByte = 1152
; NumSgprs: 29
; NumVgprs: 28
; NumAgprs: 0
; TotalNumVgprs: 28
; ScratchSize: 0
; MemoryBound: 0
; FloatMode: 240
; IeeeMode: 1
; LDSByteSize: 0 bytes/workgroup (compile time only)
; SGPRBlocks: 3
; VGPRBlocks: 3
; NumSGPRsForWavesPerEU: 29
; NumVGPRsForWavesPerEU: 28
; AccumOffset: 28
; Occupancy: 8
; WaveLimiterHint : 0
; COMPUTE_PGM_RSRC2:SCRATCH_EN: 0
; COMPUTE_PGM_RSRC2:USER_SGPR: 6
; COMPUTE_PGM_RSRC2:TRAP_HANDLER: 0
; COMPUTE_PGM_RSRC2:TGID_X_EN: 1
; COMPUTE_PGM_RSRC2:TGID_Y_EN: 0
; COMPUTE_PGM_RSRC2:TGID_Z_EN: 0
; COMPUTE_PGM_RSRC2:TIDIG_COMP_CNT: 0
; COMPUTE_PGM_RSRC3_GFX90A:ACCUM_OFFSET: 6
; COMPUTE_PGM_RSRC3_GFX90A:TG_SPLIT: 0
	.section	.text._ZN2at6native12_GLOBAL__N_125multi_tensor_apply_kernelINS1_18TensorListMetadataILi1EEENS1_27BinaryOpScalarTensorFunctorIaLi1ELi1ELi0EEEJSt4plusIaEPaaEEEvT_T0_DpT1_,"axG",@progbits,_ZN2at6native12_GLOBAL__N_125multi_tensor_apply_kernelINS1_18TensorListMetadataILi1EEENS1_27BinaryOpScalarTensorFunctorIaLi1ELi1ELi0EEEJSt4plusIaEPaaEEEvT_T0_DpT1_,comdat
	.globl	_ZN2at6native12_GLOBAL__N_125multi_tensor_apply_kernelINS1_18TensorListMetadataILi1EEENS1_27BinaryOpScalarTensorFunctorIaLi1ELi1ELi0EEEJSt4plusIaEPaaEEEvT_T0_DpT1_ ; -- Begin function _ZN2at6native12_GLOBAL__N_125multi_tensor_apply_kernelINS1_18TensorListMetadataILi1EEENS1_27BinaryOpScalarTensorFunctorIaLi1ELi1ELi0EEEJSt4plusIaEPaaEEEvT_T0_DpT1_
	.p2align	8
	.type	_ZN2at6native12_GLOBAL__N_125multi_tensor_apply_kernelINS1_18TensorListMetadataILi1EEENS1_27BinaryOpScalarTensorFunctorIaLi1ELi1ELi0EEEJSt4plusIaEPaaEEEvT_T0_DpT1_,@function
_ZN2at6native12_GLOBAL__N_125multi_tensor_apply_kernelINS1_18TensorListMetadataILi1EEENS1_27BinaryOpScalarTensorFunctorIaLi1ELi1ELi0EEEJSt4plusIaEPaaEEEvT_T0_DpT1_: ; @_ZN2at6native12_GLOBAL__N_125multi_tensor_apply_kernelINS1_18TensorListMetadataILi1EEENS1_27BinaryOpScalarTensorFunctorIaLi1ELi1ELi0EEEJSt4plusIaEPaaEEEvT_T0_DpT1_
; %bb.0:
	v_mov_b32_e32 v1, s6
	global_load_ubyte v1, v1, s[4:5] offset:1760
	s_add_u32 s0, s4, s6
	s_mul_hi_u32 s1, s6, 3
	s_mul_i32 s6, s6, 3
	s_addc_u32 s2, s5, 0
	s_add_u32 s0, s0, s6
	s_addc_u32 s1, s2, s1
	s_load_dword s2, s[0:1], 0x820
	s_load_dword s21, s[4:5], 0xd38
	s_waitcnt vmcnt(0)
	v_readfirstlane_b32 s0, v1
	s_lshl_b32 s3, s0, 3
	s_load_dwordx2 s[0:1], s[4:5], s3 offset:0x0
	s_load_dwordx2 s[10:11], s[4:5], 0xd30
	s_load_dwordx2 s[6:7], s[4:5], s3 offset:0x370
	s_waitcnt lgkmcnt(0)
	s_ashr_i32 s3, s2, 31
	s_lshl_b64 s[2:3], s[2:3], 16
	s_add_u32 s20, s0, s2
	s_addc_u32 s22, s1, s3
	s_sub_u32 s12, s6, s2
	s_subb_u32 s13, s7, s3
	s_or_b32 s6, s6, s20
	s_and_b32 s6, s6, 3
	s_cmp_eq_u32 s6, 0
	s_cbranch_scc1 .LBB1_21
; %bb.1:
	v_cmp_lt_i64_e64 s[6:7], s[12:13], 1
	s_and_b64 vcc, exec, s[6:7]
	s_cbranch_vccnz .LBB1_20
; %bb.2:
	s_load_dword s6, s[4:5], 0xd4c
	v_mov_b32_e32 v2, 0x10000
	v_mov_b32_e32 v3, 0
	v_cmp_lt_u64_e32 vcc, s[12:13], v[2:3]
	v_mov_b32_e32 v4, s3
	s_waitcnt lgkmcnt(0)
	s_and_b32 s8, s6, 0xffff
	s_and_b64 s[6:7], vcc, exec
	s_cselect_b32 s15, s13, 0
	s_cselect_b32 s14, s12, 0x10000
	s_lshl_b32 s9, s8, 1
	s_mul_i32 s6, s8, 3
	s_lshl_b32 s23, s8, 2
	s_and_b32 s24, s21, 0xff
	s_add_u32 s7, s2, s6
	v_add_co_u32_e32 v5, vcc, s2, v0
	s_addc_u32 s16, s3, 0
	v_addc_co_u32_e32 v4, vcc, 0, v4, vcc
	s_add_u32 s7, s0, s7
	v_mov_b32_e32 v7, s1
	v_add_co_u32_e32 v6, vcc, s0, v5
	s_addc_u32 s16, s1, s16
	v_addc_co_u32_e32 v7, vcc, v7, v4, vcc
	s_add_u32 s2, s2, s9
	v_mov_b32_e32 v9, s16
	v_add_co_u32_e32 v8, vcc, s7, v0
	s_addc_u32 s3, s3, 0
	v_addc_co_u32_e32 v9, vcc, 0, v9, vcc
	s_add_u32 s2, s0, s2
	v_add_co_u32_e32 v10, vcc, s6, v0
	s_addc_u32 s3, s1, s3
	v_addc_co_u32_e64 v11, s[6:7], 0, 0, vcc
	v_mov_b32_e32 v13, s3
	v_add_co_u32_e32 v12, vcc, s2, v0
	v_addc_co_u32_e32 v13, vcc, 0, v13, vcc
	s_add_u32 s0, s0, s8
	v_add_co_u32_e32 v14, vcc, s9, v0
	s_addc_u32 s1, s1, 0
	v_addc_co_u32_e64 v15, s[2:3], 0, 0, vcc
	v_mov_b32_e32 v17, s1
	v_add_co_u32_e32 v16, vcc, s0, v5
	v_addc_co_u32_e32 v17, vcc, v17, v4, vcc
	v_add_co_u32_e32 v18, vcc, s8, v0
	v_mov_b32_e32 v1, 0
	v_addc_co_u32_e64 v19, s[0:1], 0, 0, vcc
	s_mov_b64 s[16:17], 0
	v_pk_mov_b32 v[4:5], s[12:13], s[12:13] op_sel:[0,1]
	s_branch .LBB1_4
.LBB1_3:                                ;   in Loop: Header=BB1_4 Depth=1
	s_or_b64 exec, exec, s[0:1]
	s_add_u32 s16, s16, s23
	s_addc_u32 s17, s17, 0
	v_cmp_lt_i64_e32 vcc, s[16:17], v[4:5]
	v_cmp_lt_u64_e64 s[0:1], s[16:17], v[2:3]
	s_and_b64 s[0:1], vcc, s[0:1]
	s_and_b64 vcc, exec, s[0:1]
	s_cbranch_vccz .LBB1_20
.LBB1_4:                                ; =>This Inner Loop Header: Depth=1
	v_mov_b32_e32 v21, s17
	v_add_co_u32_e32 v20, vcc, s16, v0
	v_addc_co_u32_e32 v21, vcc, 0, v21, vcc
	v_cmp_gt_u64_e32 vcc, s[14:15], v[20:21]
	v_mov_b32_e32 v21, 0
	s_and_saveexec_b64 s[2:3], vcc
	s_cbranch_execz .LBB1_6
; %bb.5:                                ;   in Loop: Header=BB1_4 Depth=1
	v_mov_b32_e32 v21, s17
	v_add_co_u32_e64 v20, s[0:1], s16, v6
	v_addc_co_u32_e64 v21, s[0:1], v7, v21, s[0:1]
	global_load_ubyte v21, v[20:21], off
.LBB1_6:                                ;   in Loop: Header=BB1_4 Depth=1
	s_or_b64 exec, exec, s[2:3]
	v_mov_b32_e32 v20, s17
	v_add_co_u32_e64 v22, s[0:1], s16, v18
	v_addc_co_u32_e64 v23, s[0:1], v19, v20, s[0:1]
	v_cmp_gt_u64_e64 s[0:1], s[14:15], v[22:23]
	v_mov_b32_e32 v20, 0
	v_mov_b32_e32 v22, 0
	s_and_saveexec_b64 s[6:7], s[0:1]
	s_cbranch_execz .LBB1_8
; %bb.7:                                ;   in Loop: Header=BB1_4 Depth=1
	v_mov_b32_e32 v23, s17
	v_add_co_u32_e64 v22, s[2:3], s16, v16
	v_addc_co_u32_e64 v23, s[2:3], v17, v23, s[2:3]
	global_load_ubyte v22, v[22:23], off
.LBB1_8:                                ;   in Loop: Header=BB1_4 Depth=1
	s_or_b64 exec, exec, s[6:7]
	v_mov_b32_e32 v23, s17
	v_add_co_u32_e64 v24, s[2:3], s16, v14
	v_addc_co_u32_e64 v25, s[2:3], v15, v23, s[2:3]
	v_cmp_gt_u64_e64 s[2:3], s[14:15], v[24:25]
	s_and_saveexec_b64 s[8:9], s[2:3]
	s_cbranch_execz .LBB1_10
; %bb.9:                                ;   in Loop: Header=BB1_4 Depth=1
	v_mov_b32_e32 v20, s17
	v_add_co_u32_e64 v24, s[6:7], s16, v12
	v_addc_co_u32_e64 v25, s[6:7], v13, v20, s[6:7]
	global_load_ubyte v20, v[24:25], off
.LBB1_10:                               ;   in Loop: Header=BB1_4 Depth=1
	s_or_b64 exec, exec, s[8:9]
	v_mov_b32_e32 v23, s17
	v_add_co_u32_e64 v24, s[6:7], s16, v10
	v_addc_co_u32_e64 v25, s[6:7], v11, v23, s[6:7]
	v_cmp_gt_u64_e64 s[6:7], s[14:15], v[24:25]
	v_mov_b32_e32 v23, 0
	s_and_saveexec_b64 s[18:19], s[6:7]
	s_cbranch_execz .LBB1_12
; %bb.11:                               ;   in Loop: Header=BB1_4 Depth=1
	v_mov_b32_e32 v23, s17
	v_add_co_u32_e64 v24, s[8:9], s16, v8
	v_addc_co_u32_e64 v25, s[8:9], v9, v23, s[8:9]
	global_load_ubyte v23, v[24:25], off
.LBB1_12:                               ;   in Loop: Header=BB1_4 Depth=1
	s_or_b64 exec, exec, s[18:19]
	global_load_ubyte v24, v1, s[10:11]
	s_waitcnt vmcnt(0)
	v_mul_lo_u32 v24, v24, s24
	s_and_saveexec_b64 s[8:9], vcc
	s_cbranch_execnz .LBB1_16
; %bb.13:                               ;   in Loop: Header=BB1_4 Depth=1
	s_or_b64 exec, exec, s[8:9]
	s_and_saveexec_b64 s[8:9], s[0:1]
	s_cbranch_execnz .LBB1_17
.LBB1_14:                               ;   in Loop: Header=BB1_4 Depth=1
	s_or_b64 exec, exec, s[8:9]
	s_and_saveexec_b64 s[0:1], s[2:3]
	s_cbranch_execnz .LBB1_18
.LBB1_15:                               ;   in Loop: Header=BB1_4 Depth=1
	s_or_b64 exec, exec, s[0:1]
	s_and_saveexec_b64 s[0:1], s[6:7]
	s_cbranch_execz .LBB1_3
	s_branch .LBB1_19
.LBB1_16:                               ;   in Loop: Header=BB1_4 Depth=1
	v_mov_b32_e32 v25, s17
	v_add_co_u32_e32 v26, vcc, s16, v6
	v_addc_co_u32_e32 v27, vcc, v7, v25, vcc
	v_add_u16_e32 v21, v24, v21
	global_store_byte v[26:27], v21, off
	s_or_b64 exec, exec, s[8:9]
	s_and_saveexec_b64 s[8:9], s[0:1]
	s_cbranch_execz .LBB1_14
.LBB1_17:                               ;   in Loop: Header=BB1_4 Depth=1
	v_add_u16_e32 v21, v24, v22
	v_mov_b32_e32 v22, s17
	v_add_co_u32_e32 v26, vcc, s16, v16
	v_addc_co_u32_e32 v27, vcc, v17, v22, vcc
	global_store_byte v[26:27], v21, off
	s_or_b64 exec, exec, s[8:9]
	s_and_saveexec_b64 s[0:1], s[2:3]
	s_cbranch_execz .LBB1_15
.LBB1_18:                               ;   in Loop: Header=BB1_4 Depth=1
	v_add_u16_e32 v22, v24, v20
	v_mov_b32_e32 v21, s17
	v_add_co_u32_e32 v20, vcc, s16, v12
	v_addc_co_u32_e32 v21, vcc, v13, v21, vcc
	global_store_byte v[20:21], v22, off
	s_or_b64 exec, exec, s[0:1]
	s_and_saveexec_b64 s[0:1], s[6:7]
	s_cbranch_execz .LBB1_3
.LBB1_19:                               ;   in Loop: Header=BB1_4 Depth=1
	v_mov_b32_e32 v21, s17
	v_add_co_u32_e32 v20, vcc, s16, v8
	v_add_u16_e32 v22, v24, v23
	v_addc_co_u32_e32 v21, vcc, v9, v21, vcc
	global_store_byte v[20:21], v22, off
	s_branch .LBB1_3
.LBB1_20:
	s_cbranch_execz .LBB1_22
	s_branch .LBB1_25
.LBB1_21:
.LBB1_22:
	v_lshlrev_b32_e32 v0, 2, v0
	v_mov_b32_e32 v1, 0
	v_cmp_gt_i64_e32 vcc, s[12:13], v[0:1]
	s_and_saveexec_b64 s[0:1], vcc
	s_cbranch_execz .LBB1_25
; %bb.23:
	s_load_dword s0, s[4:5], 0xd4c
	s_mov_b32 s1, 0
	s_and_b32 s6, s21, 0xff
	s_mov_b64 s[2:3], 0
	v_mov_b32_e32 v4, s22
	s_waitcnt lgkmcnt(0)
	s_and_b32 s0, s0, 0xffff
	s_lshl_b32 s7, s0, 2
	v_mov_b32_e32 v5, s1
	s_mov_b64 s[4:5], 0xffff
	v_mov_b32_e32 v6, 8
	v_pk_mov_b32 v[2:3], v[0:1], v[0:1] op_sel:[0,1]
.LBB1_24:                               ; =>This Inner Loop Header: Depth=1
	v_add_co_u32_e32 v8, vcc, s20, v2
	v_addc_co_u32_e32 v9, vcc, v4, v3, vcc
	global_load_ubyte v0, v1, s[10:11]
	global_load_dword v7, v[8:9], off
	v_add_co_u32_e32 v2, vcc, s7, v2
	v_addc_co_u32_e32 v3, vcc, v5, v3, vcc
	v_cmp_le_i64_e32 vcc, s[12:13], v[2:3]
	v_cmp_lt_u64_e64 s[0:1], s[4:5], v[2:3]
	s_or_b64 s[0:1], vcc, s[0:1]
	s_and_b64 s[0:1], exec, s[0:1]
	s_or_b64 s[2:3], s[0:1], s[2:3]
	s_waitcnt vmcnt(1)
	v_mul_lo_u32 v0, v0, s6
	s_waitcnt vmcnt(0)
	v_lshrrev_b32_e32 v10, 8, v7
	v_add_u16_sdwa v12, v0, v7 dst_sel:DWORD dst_unused:UNUSED_PAD src0_sel:DWORD src1_sel:WORD_1
	v_add_u16_e32 v11, v0, v7
	v_add_u16_sdwa v7, v0, v7 dst_sel:DWORD dst_unused:UNUSED_PAD src0_sel:DWORD src1_sel:BYTE_3
	v_add_u16_e32 v0, v0, v10
	v_and_b32_e32 v10, 0xff, v12
	v_lshlrev_b32_e32 v10, 16, v10
	v_and_b32_e32 v11, 0xff, v11
	v_lshlrev_b32_sdwa v0, v6, v0 dst_sel:DWORD dst_unused:UNUSED_PAD src0_sel:DWORD src1_sel:BYTE_0
	v_lshl_or_b32 v7, v7, 24, v10
	v_or3_b32 v0, v7, v0, v11
	global_store_dword v[8:9], v0, off
	s_andn2_b64 exec, exec, s[2:3]
	s_cbranch_execnz .LBB1_24
.LBB1_25:
	s_endpgm
	.section	.rodata,"a",@progbits
	.p2align	6, 0x0
	.amdhsa_kernel _ZN2at6native12_GLOBAL__N_125multi_tensor_apply_kernelINS1_18TensorListMetadataILi1EEENS1_27BinaryOpScalarTensorFunctorIaLi1ELi1ELi0EEEJSt4plusIaEPaaEEEvT_T0_DpT1_
		.amdhsa_group_segment_fixed_size 0
		.amdhsa_private_segment_fixed_size 0
		.amdhsa_kernarg_size 3648
		.amdhsa_user_sgpr_count 6
		.amdhsa_user_sgpr_private_segment_buffer 1
		.amdhsa_user_sgpr_dispatch_ptr 0
		.amdhsa_user_sgpr_queue_ptr 0
		.amdhsa_user_sgpr_kernarg_segment_ptr 1
		.amdhsa_user_sgpr_dispatch_id 0
		.amdhsa_user_sgpr_flat_scratch_init 0
		.amdhsa_user_sgpr_kernarg_preload_length 0
		.amdhsa_user_sgpr_kernarg_preload_offset 0
		.amdhsa_user_sgpr_private_segment_size 0
		.amdhsa_uses_dynamic_stack 0
		.amdhsa_system_sgpr_private_segment_wavefront_offset 0
		.amdhsa_system_sgpr_workgroup_id_x 1
		.amdhsa_system_sgpr_workgroup_id_y 0
		.amdhsa_system_sgpr_workgroup_id_z 0
		.amdhsa_system_sgpr_workgroup_info 0
		.amdhsa_system_vgpr_workitem_id 0
		.amdhsa_next_free_vgpr 28
		.amdhsa_next_free_sgpr 25
		.amdhsa_accum_offset 28
		.amdhsa_reserve_vcc 1
		.amdhsa_reserve_flat_scratch 0
		.amdhsa_float_round_mode_32 0
		.amdhsa_float_round_mode_16_64 0
		.amdhsa_float_denorm_mode_32 3
		.amdhsa_float_denorm_mode_16_64 3
		.amdhsa_dx10_clamp 1
		.amdhsa_ieee_mode 1
		.amdhsa_fp16_overflow 0
		.amdhsa_tg_split 0
		.amdhsa_exception_fp_ieee_invalid_op 0
		.amdhsa_exception_fp_denorm_src 0
		.amdhsa_exception_fp_ieee_div_zero 0
		.amdhsa_exception_fp_ieee_overflow 0
		.amdhsa_exception_fp_ieee_underflow 0
		.amdhsa_exception_fp_ieee_inexact 0
		.amdhsa_exception_int_div_zero 0
	.end_amdhsa_kernel
	.section	.text._ZN2at6native12_GLOBAL__N_125multi_tensor_apply_kernelINS1_18TensorListMetadataILi1EEENS1_27BinaryOpScalarTensorFunctorIaLi1ELi1ELi0EEEJSt4plusIaEPaaEEEvT_T0_DpT1_,"axG",@progbits,_ZN2at6native12_GLOBAL__N_125multi_tensor_apply_kernelINS1_18TensorListMetadataILi1EEENS1_27BinaryOpScalarTensorFunctorIaLi1ELi1ELi0EEEJSt4plusIaEPaaEEEvT_T0_DpT1_,comdat
.Lfunc_end1:
	.size	_ZN2at6native12_GLOBAL__N_125multi_tensor_apply_kernelINS1_18TensorListMetadataILi1EEENS1_27BinaryOpScalarTensorFunctorIaLi1ELi1ELi0EEEJSt4plusIaEPaaEEEvT_T0_DpT1_, .Lfunc_end1-_ZN2at6native12_GLOBAL__N_125multi_tensor_apply_kernelINS1_18TensorListMetadataILi1EEENS1_27BinaryOpScalarTensorFunctorIaLi1ELi1ELi0EEEJSt4plusIaEPaaEEEvT_T0_DpT1_
                                        ; -- End function
	.section	.AMDGPU.csdata,"",@progbits
; Kernel info:
; codeLenInByte = 1152
; NumSgprs: 29
; NumVgprs: 28
; NumAgprs: 0
; TotalNumVgprs: 28
; ScratchSize: 0
; MemoryBound: 0
; FloatMode: 240
; IeeeMode: 1
; LDSByteSize: 0 bytes/workgroup (compile time only)
; SGPRBlocks: 3
; VGPRBlocks: 3
; NumSGPRsForWavesPerEU: 29
; NumVGPRsForWavesPerEU: 28
; AccumOffset: 28
; Occupancy: 8
; WaveLimiterHint : 0
; COMPUTE_PGM_RSRC2:SCRATCH_EN: 0
; COMPUTE_PGM_RSRC2:USER_SGPR: 6
; COMPUTE_PGM_RSRC2:TRAP_HANDLER: 0
; COMPUTE_PGM_RSRC2:TGID_X_EN: 1
; COMPUTE_PGM_RSRC2:TGID_Y_EN: 0
; COMPUTE_PGM_RSRC2:TGID_Z_EN: 0
; COMPUTE_PGM_RSRC2:TIDIG_COMP_CNT: 0
; COMPUTE_PGM_RSRC3_GFX90A:ACCUM_OFFSET: 6
; COMPUTE_PGM_RSRC3_GFX90A:TG_SPLIT: 0
	.section	.text._ZN2at6native12_GLOBAL__N_125multi_tensor_apply_kernelINS1_18TensorListMetadataILi1EEENS1_27BinaryOpScalarTensorFunctorIiLi1ELi1ELi0EEEJSt4plusIiEPiiEEEvT_T0_DpT1_,"axG",@progbits,_ZN2at6native12_GLOBAL__N_125multi_tensor_apply_kernelINS1_18TensorListMetadataILi1EEENS1_27BinaryOpScalarTensorFunctorIiLi1ELi1ELi0EEEJSt4plusIiEPiiEEEvT_T0_DpT1_,comdat
	.globl	_ZN2at6native12_GLOBAL__N_125multi_tensor_apply_kernelINS1_18TensorListMetadataILi1EEENS1_27BinaryOpScalarTensorFunctorIiLi1ELi1ELi0EEEJSt4plusIiEPiiEEEvT_T0_DpT1_ ; -- Begin function _ZN2at6native12_GLOBAL__N_125multi_tensor_apply_kernelINS1_18TensorListMetadataILi1EEENS1_27BinaryOpScalarTensorFunctorIiLi1ELi1ELi0EEEJSt4plusIiEPiiEEEvT_T0_DpT1_
	.p2align	8
	.type	_ZN2at6native12_GLOBAL__N_125multi_tensor_apply_kernelINS1_18TensorListMetadataILi1EEENS1_27BinaryOpScalarTensorFunctorIiLi1ELi1ELi0EEEJSt4plusIiEPiiEEEvT_T0_DpT1_,@function
_ZN2at6native12_GLOBAL__N_125multi_tensor_apply_kernelINS1_18TensorListMetadataILi1EEENS1_27BinaryOpScalarTensorFunctorIiLi1ELi1ELi0EEEJSt4plusIiEPiiEEEvT_T0_DpT1_: ; @_ZN2at6native12_GLOBAL__N_125multi_tensor_apply_kernelINS1_18TensorListMetadataILi1EEENS1_27BinaryOpScalarTensorFunctorIiLi1ELi1ELi0EEEJSt4plusIiEPiiEEEvT_T0_DpT1_
; %bb.0:
	v_mov_b32_e32 v1, s6
	global_load_ubyte v1, v1, s[4:5] offset:1760
	s_add_u32 s0, s4, s6
	s_mul_hi_u32 s1, s6, 3
	s_mul_i32 s6, s6, 3
	s_addc_u32 s2, s5, 0
	s_add_u32 s0, s0, s6
	s_addc_u32 s1, s2, s1
	s_load_dword s0, s[0:1], 0x820
	s_mov_b32 s7, 0
	s_load_dword s24, s[4:5], 0xd38
	s_waitcnt vmcnt(0)
	v_readfirstlane_b32 s1, v1
	s_lshl_b32 s1, s1, 3
	s_load_dwordx2 s[10:11], s[4:5], 0xd30
	s_load_dwordx2 s[2:3], s[4:5], s1 offset:0x370
	s_load_dwordx2 s[14:15], s[4:5], s1 offset:0x0
	s_waitcnt lgkmcnt(0)
	s_ashr_i32 s1, s0, 31
	s_lshl_b64 s[16:17], s[0:1], 18
	s_lshl_b64 s[0:1], s[0:1], 16
	s_and_b32 s6, s14, 15
	s_sub_u32 s12, s2, s0
	s_subb_u32 s13, s3, s1
	s_and_b32 s0, s2, 3
	s_mov_b32 s1, s7
	s_or_b64 s[0:1], s[6:7], s[0:1]
	s_cmp_eq_u64 s[0:1], 0
	s_cbranch_scc1 .LBB2_21
; %bb.1:
	v_cmp_lt_i64_e64 s[0:1], s[12:13], 1
	s_and_b64 vcc, exec, s[0:1]
	s_cbranch_vccnz .LBB2_20
; %bb.2:
	s_load_dword s0, s[4:5], 0xd4c
	v_mov_b32_e32 v2, 0x10000
	v_mov_b32_e32 v3, 0
	v_cmp_lt_u64_e32 vcc, s[12:13], v[2:3]
	v_lshlrev_b32_e32 v4, 2, v0
	s_waitcnt lgkmcnt(0)
	s_and_b32 s3, s0, 0xffff
	s_and_b64 s[0:1], vcc, exec
	s_cselect_b32 s19, s13, 0
	s_cselect_b32 s18, s12, 0x10000
	s_lshl_b32 s6, s3, 1
	s_lshl_b32 s25, s3, 2
	s_add_u32 s7, s14, s16
	s_addc_u32 s8, s15, s17
	v_mov_b32_e32 v5, s8
	v_add_co_u32_e32 v4, vcc, s7, v4
	s_mul_i32 s0, s3, 3
	v_addc_co_u32_e32 v5, vcc, 0, v5, vcc
	v_add_co_u32_e32 v10, vcc, s0, v0
	v_addc_co_u32_e64 v11, s[0:1], 0, 0, vcc
	v_add_co_u32_e32 v12, vcc, s6, v0
	v_addc_co_u32_e64 v13, s[0:1], 0, 0, vcc
	v_add_co_u32_e32 v14, vcc, s3, v0
	v_lshlrev_b32_e32 v6, 2, v14
	s_mov_b32 s2, 0
	v_addc_co_u32_e64 v15, s[0:1], 0, 0, vcc
	v_mov_b32_e32 v7, s8
	v_add_co_u32_e32 v6, vcc, s7, v6
	v_mov_b32_e32 v1, 0
	s_lshl_b32 s26, s3, 4
	s_mul_i32 s27, s3, 12
	s_mov_b32 s28, s2
	s_lshl_b32 s29, s3, 3
	s_mov_b32 s30, s2
	v_addc_co_u32_e32 v7, vcc, 0, v7, vcc
	s_mov_b64 s[20:21], 0
	v_pk_mov_b32 v[8:9], s[12:13], s[12:13] op_sel:[0,1]
	v_mov_b32_e32 v16, s2
	s_branch .LBB2_4
.LBB2_3:                                ;   in Loop: Header=BB2_4 Depth=1
	s_or_b64 exec, exec, s[0:1]
	s_add_u32 s20, s20, s25
	s_addc_u32 s21, s21, 0
	v_cmp_lt_i64_e32 vcc, s[20:21], v[8:9]
	v_cmp_lt_u64_e64 s[0:1], s[20:21], v[2:3]
	s_and_b64 s[0:1], vcc, s[0:1]
	v_add_co_u32_e32 v4, vcc, s26, v4
	v_addc_co_u32_e32 v5, vcc, v5, v16, vcc
	v_add_co_u32_e32 v6, vcc, s26, v6
	v_addc_co_u32_e32 v7, vcc, v7, v16, vcc
	s_and_b64 vcc, exec, s[0:1]
	s_cbranch_vccz .LBB2_20
.LBB2_4:                                ; =>This Inner Loop Header: Depth=1
	v_mov_b32_e32 v17, s21
	v_add_co_u32_e32 v18, vcc, s20, v0
	v_addc_co_u32_e32 v19, vcc, 0, v17, vcc
	v_cmp_gt_u64_e32 vcc, s[18:19], v[18:19]
	v_mov_b32_e32 v17, 0
	s_and_saveexec_b64 s[0:1], vcc
	s_cbranch_execz .LBB2_6
; %bb.5:                                ;   in Loop: Header=BB2_4 Depth=1
	global_load_dword v17, v[4:5], off
.LBB2_6:                                ;   in Loop: Header=BB2_4 Depth=1
	s_or_b64 exec, exec, s[0:1]
	v_mov_b32_e32 v19, s21
	v_add_co_u32_e64 v18, s[0:1], s20, v14
	v_addc_co_u32_e64 v19, s[0:1], v15, v19, s[0:1]
	v_cmp_gt_u64_e64 s[0:1], s[18:19], v[18:19]
	v_mov_b32_e32 v18, 0
	v_mov_b32_e32 v19, 0
	s_and_saveexec_b64 s[2:3], s[0:1]
	s_cbranch_execz .LBB2_8
; %bb.7:                                ;   in Loop: Header=BB2_4 Depth=1
	global_load_dword v19, v[6:7], off
.LBB2_8:                                ;   in Loop: Header=BB2_4 Depth=1
	s_or_b64 exec, exec, s[2:3]
	v_mov_b32_e32 v21, s21
	v_add_co_u32_e64 v20, s[2:3], s20, v12
	v_addc_co_u32_e64 v21, s[2:3], v13, v21, s[2:3]
	v_cmp_gt_u64_e64 s[2:3], s[18:19], v[20:21]
	s_and_saveexec_b64 s[8:9], s[2:3]
	s_cbranch_execz .LBB2_10
; %bb.9:                                ;   in Loop: Header=BB2_4 Depth=1
	v_mov_b32_e32 v18, s30
	v_add_co_u32_e64 v20, s[6:7], s29, v4
	v_addc_co_u32_e64 v21, s[6:7], v5, v18, s[6:7]
	global_load_dword v18, v[20:21], off
.LBB2_10:                               ;   in Loop: Header=BB2_4 Depth=1
	s_or_b64 exec, exec, s[8:9]
	v_mov_b32_e32 v21, s21
	v_add_co_u32_e64 v20, s[6:7], s20, v10
	v_addc_co_u32_e64 v21, s[6:7], v11, v21, s[6:7]
	v_cmp_gt_u64_e64 s[6:7], s[18:19], v[20:21]
	v_mov_b32_e32 v20, 0
	s_and_saveexec_b64 s[22:23], s[6:7]
	s_cbranch_execz .LBB2_12
; %bb.11:                               ;   in Loop: Header=BB2_4 Depth=1
	v_mov_b32_e32 v21, s28
	v_add_co_u32_e64 v20, s[8:9], s27, v4
	v_addc_co_u32_e64 v21, s[8:9], v5, v21, s[8:9]
	global_load_dword v20, v[20:21], off
.LBB2_12:                               ;   in Loop: Header=BB2_4 Depth=1
	s_or_b64 exec, exec, s[22:23]
	global_load_dword v21, v1, s[10:11]
	s_waitcnt vmcnt(0)
	v_mul_lo_u32 v21, v21, s24
	s_and_saveexec_b64 s[8:9], vcc
	s_cbranch_execnz .LBB2_16
; %bb.13:                               ;   in Loop: Header=BB2_4 Depth=1
	s_or_b64 exec, exec, s[8:9]
	s_and_saveexec_b64 s[8:9], s[0:1]
	s_cbranch_execnz .LBB2_17
.LBB2_14:                               ;   in Loop: Header=BB2_4 Depth=1
	s_or_b64 exec, exec, s[8:9]
	s_and_saveexec_b64 s[0:1], s[2:3]
	s_cbranch_execnz .LBB2_18
.LBB2_15:                               ;   in Loop: Header=BB2_4 Depth=1
	s_or_b64 exec, exec, s[0:1]
	s_and_saveexec_b64 s[0:1], s[6:7]
	s_cbranch_execz .LBB2_3
	s_branch .LBB2_19
.LBB2_16:                               ;   in Loop: Header=BB2_4 Depth=1
	v_add_u32_e32 v17, v21, v17
	global_store_dword v[4:5], v17, off
	s_or_b64 exec, exec, s[8:9]
	s_and_saveexec_b64 s[8:9], s[0:1]
	s_cbranch_execz .LBB2_14
.LBB2_17:                               ;   in Loop: Header=BB2_4 Depth=1
	v_add_u32_e32 v17, v21, v19
	global_store_dword v[6:7], v17, off
	s_or_b64 exec, exec, s[8:9]
	s_and_saveexec_b64 s[0:1], s[2:3]
	s_cbranch_execz .LBB2_15
.LBB2_18:                               ;   in Loop: Header=BB2_4 Depth=1
	v_add_u32_e32 v17, v21, v18
	v_mov_b32_e32 v19, s30
	v_add_co_u32_e32 v18, vcc, s29, v4
	v_addc_co_u32_e32 v19, vcc, v5, v19, vcc
	global_store_dword v[18:19], v17, off
	s_or_b64 exec, exec, s[0:1]
	s_and_saveexec_b64 s[0:1], s[6:7]
	s_cbranch_execz .LBB2_3
.LBB2_19:                               ;   in Loop: Header=BB2_4 Depth=1
	v_mov_b32_e32 v19, s28
	v_add_co_u32_e32 v18, vcc, s27, v4
	v_add_u32_e32 v17, v21, v20
	v_addc_co_u32_e32 v19, vcc, v5, v19, vcc
	global_store_dword v[18:19], v17, off
	s_branch .LBB2_3
.LBB2_20:
	s_cbranch_execz .LBB2_22
	s_branch .LBB2_25
.LBB2_21:
.LBB2_22:
	v_mov_b32_e32 v3, 0
	v_lshlrev_b32_e32 v2, 2, v0
	s_mov_b32 s0, 0
	v_cmp_gt_i64_e32 vcc, s[12:13], v[2:3]
	s_and_saveexec_b64 s[2:3], vcc
	s_cbranch_execz .LBB2_25
; %bb.23:
	s_load_dword s1, s[4:5], 0xd4c
	v_lshlrev_b32_e32 v1, 4, v0
	s_mov_b64 s[4:5], 0xffff
	v_mov_b32_e32 v6, s0
	v_mov_b32_e32 v7, s0
	s_waitcnt lgkmcnt(0)
	s_and_b32 s1, s1, 0xffff
	s_add_u32 s2, s14, s16
	s_addc_u32 s3, s15, s17
	v_mov_b32_e32 v2, s3
	v_add_co_u32_e32 v1, vcc, s2, v1
	v_addc_co_u32_e32 v2, vcc, 0, v2, vcc
	v_add_co_u32_e32 v4, vcc, 8, v1
	v_addc_co_u32_e32 v5, vcc, 0, v2, vcc
	v_add_lshl_u32 v2, v0, s1, 2
	s_lshl_b32 s6, s1, 4
	s_lshl_b32 s7, s1, 2
	s_mov_b64 s[2:3], 0
	v_pk_mov_b32 v[0:1], v[2:3], v[2:3] op_sel:[0,1]
.LBB2_24:                               ; =>This Inner Loop Header: Depth=1
	global_load_dword v2, v3, s[10:11]
	global_load_dwordx4 v[8:11], v[4:5], off offset:-8
	v_cmp_le_i64_e32 vcc, s[12:13], v[0:1]
	v_cmp_lt_u64_e64 s[0:1], s[4:5], v[0:1]
	s_or_b64 s[0:1], vcc, s[0:1]
	s_and_b64 s[0:1], exec, s[0:1]
	s_or_b64 s[2:3], s[0:1], s[2:3]
	s_waitcnt vmcnt(1)
	v_mul_lo_u32 v2, v2, s24
	s_waitcnt vmcnt(0)
	v_add_u32_e32 v9, v2, v9
	v_add_u32_e32 v8, v2, v8
	;; [unrolled: 1-line block ×4, first 2 shown]
	global_store_dwordx4 v[4:5], v[8:11], off offset:-8
	v_add_co_u32_e32 v4, vcc, s6, v4
	v_addc_co_u32_e32 v5, vcc, v5, v6, vcc
	v_add_co_u32_e32 v0, vcc, s7, v0
	v_addc_co_u32_e32 v1, vcc, v1, v7, vcc
	s_andn2_b64 exec, exec, s[2:3]
	s_cbranch_execnz .LBB2_24
.LBB2_25:
	s_endpgm
	.section	.rodata,"a",@progbits
	.p2align	6, 0x0
	.amdhsa_kernel _ZN2at6native12_GLOBAL__N_125multi_tensor_apply_kernelINS1_18TensorListMetadataILi1EEENS1_27BinaryOpScalarTensorFunctorIiLi1ELi1ELi0EEEJSt4plusIiEPiiEEEvT_T0_DpT1_
		.amdhsa_group_segment_fixed_size 0
		.amdhsa_private_segment_fixed_size 0
		.amdhsa_kernarg_size 3648
		.amdhsa_user_sgpr_count 6
		.amdhsa_user_sgpr_private_segment_buffer 1
		.amdhsa_user_sgpr_dispatch_ptr 0
		.amdhsa_user_sgpr_queue_ptr 0
		.amdhsa_user_sgpr_kernarg_segment_ptr 1
		.amdhsa_user_sgpr_dispatch_id 0
		.amdhsa_user_sgpr_flat_scratch_init 0
		.amdhsa_user_sgpr_kernarg_preload_length 0
		.amdhsa_user_sgpr_kernarg_preload_offset 0
		.amdhsa_user_sgpr_private_segment_size 0
		.amdhsa_uses_dynamic_stack 0
		.amdhsa_system_sgpr_private_segment_wavefront_offset 0
		.amdhsa_system_sgpr_workgroup_id_x 1
		.amdhsa_system_sgpr_workgroup_id_y 0
		.amdhsa_system_sgpr_workgroup_id_z 0
		.amdhsa_system_sgpr_workgroup_info 0
		.amdhsa_system_vgpr_workitem_id 0
		.amdhsa_next_free_vgpr 22
		.amdhsa_next_free_sgpr 31
		.amdhsa_accum_offset 24
		.amdhsa_reserve_vcc 1
		.amdhsa_reserve_flat_scratch 0
		.amdhsa_float_round_mode_32 0
		.amdhsa_float_round_mode_16_64 0
		.amdhsa_float_denorm_mode_32 3
		.amdhsa_float_denorm_mode_16_64 3
		.amdhsa_dx10_clamp 1
		.amdhsa_ieee_mode 1
		.amdhsa_fp16_overflow 0
		.amdhsa_tg_split 0
		.amdhsa_exception_fp_ieee_invalid_op 0
		.amdhsa_exception_fp_denorm_src 0
		.amdhsa_exception_fp_ieee_div_zero 0
		.amdhsa_exception_fp_ieee_overflow 0
		.amdhsa_exception_fp_ieee_underflow 0
		.amdhsa_exception_fp_ieee_inexact 0
		.amdhsa_exception_int_div_zero 0
	.end_amdhsa_kernel
	.section	.text._ZN2at6native12_GLOBAL__N_125multi_tensor_apply_kernelINS1_18TensorListMetadataILi1EEENS1_27BinaryOpScalarTensorFunctorIiLi1ELi1ELi0EEEJSt4plusIiEPiiEEEvT_T0_DpT1_,"axG",@progbits,_ZN2at6native12_GLOBAL__N_125multi_tensor_apply_kernelINS1_18TensorListMetadataILi1EEENS1_27BinaryOpScalarTensorFunctorIiLi1ELi1ELi0EEEJSt4plusIiEPiiEEEvT_T0_DpT1_,comdat
.Lfunc_end2:
	.size	_ZN2at6native12_GLOBAL__N_125multi_tensor_apply_kernelINS1_18TensorListMetadataILi1EEENS1_27BinaryOpScalarTensorFunctorIiLi1ELi1ELi0EEEJSt4plusIiEPiiEEEvT_T0_DpT1_, .Lfunc_end2-_ZN2at6native12_GLOBAL__N_125multi_tensor_apply_kernelINS1_18TensorListMetadataILi1EEENS1_27BinaryOpScalarTensorFunctorIiLi1ELi1ELi0EEEJSt4plusIiEPiiEEEvT_T0_DpT1_
                                        ; -- End function
	.section	.AMDGPU.csdata,"",@progbits
; Kernel info:
; codeLenInByte = 1048
; NumSgprs: 35
; NumVgprs: 22
; NumAgprs: 0
; TotalNumVgprs: 22
; ScratchSize: 0
; MemoryBound: 0
; FloatMode: 240
; IeeeMode: 1
; LDSByteSize: 0 bytes/workgroup (compile time only)
; SGPRBlocks: 4
; VGPRBlocks: 2
; NumSGPRsForWavesPerEU: 35
; NumVGPRsForWavesPerEU: 22
; AccumOffset: 24
; Occupancy: 8
; WaveLimiterHint : 0
; COMPUTE_PGM_RSRC2:SCRATCH_EN: 0
; COMPUTE_PGM_RSRC2:USER_SGPR: 6
; COMPUTE_PGM_RSRC2:TRAP_HANDLER: 0
; COMPUTE_PGM_RSRC2:TGID_X_EN: 1
; COMPUTE_PGM_RSRC2:TGID_Y_EN: 0
; COMPUTE_PGM_RSRC2:TGID_Z_EN: 0
; COMPUTE_PGM_RSRC2:TIDIG_COMP_CNT: 0
; COMPUTE_PGM_RSRC3_GFX90A:ACCUM_OFFSET: 5
; COMPUTE_PGM_RSRC3_GFX90A:TG_SPLIT: 0
	.section	.text._ZN2at6native12_GLOBAL__N_125multi_tensor_apply_kernelINS1_18TensorListMetadataILi1EEENS1_27BinaryOpScalarTensorFunctorIlLi1ELi1ELi0EEEJSt4plusIlEPllEEEvT_T0_DpT1_,"axG",@progbits,_ZN2at6native12_GLOBAL__N_125multi_tensor_apply_kernelINS1_18TensorListMetadataILi1EEENS1_27BinaryOpScalarTensorFunctorIlLi1ELi1ELi0EEEJSt4plusIlEPllEEEvT_T0_DpT1_,comdat
	.globl	_ZN2at6native12_GLOBAL__N_125multi_tensor_apply_kernelINS1_18TensorListMetadataILi1EEENS1_27BinaryOpScalarTensorFunctorIlLi1ELi1ELi0EEEJSt4plusIlEPllEEEvT_T0_DpT1_ ; -- Begin function _ZN2at6native12_GLOBAL__N_125multi_tensor_apply_kernelINS1_18TensorListMetadataILi1EEENS1_27BinaryOpScalarTensorFunctorIlLi1ELi1ELi0EEEJSt4plusIlEPllEEEvT_T0_DpT1_
	.p2align	8
	.type	_ZN2at6native12_GLOBAL__N_125multi_tensor_apply_kernelINS1_18TensorListMetadataILi1EEENS1_27BinaryOpScalarTensorFunctorIlLi1ELi1ELi0EEEJSt4plusIlEPllEEEvT_T0_DpT1_,@function
_ZN2at6native12_GLOBAL__N_125multi_tensor_apply_kernelINS1_18TensorListMetadataILi1EEENS1_27BinaryOpScalarTensorFunctorIlLi1ELi1ELi0EEEJSt4plusIlEPllEEEvT_T0_DpT1_: ; @_ZN2at6native12_GLOBAL__N_125multi_tensor_apply_kernelINS1_18TensorListMetadataILi1EEENS1_27BinaryOpScalarTensorFunctorIlLi1ELi1ELi0EEEJSt4plusIlEPllEEEvT_T0_DpT1_
; %bb.0:
	v_mov_b32_e32 v1, s6
	global_load_ubyte v1, v1, s[4:5] offset:1760
	s_add_u32 s0, s4, s6
	s_mul_hi_u32 s1, s6, 3
	s_mul_i32 s6, s6, 3
	s_addc_u32 s2, s5, 0
	s_add_u32 s0, s0, s6
	s_addc_u32 s1, s2, s1
	s_load_dword s0, s[0:1], 0x820
	s_mov_b32 s7, 0
	s_load_dwordx4 s[12:15], s[4:5], 0xd30
	s_waitcnt vmcnt(0)
	v_readfirstlane_b32 s1, v1
	s_lshl_b32 s1, s1, 3
	s_load_dwordx2 s[2:3], s[4:5], s1 offset:0x370
	s_load_dwordx2 s[16:17], s[4:5], s1 offset:0x0
	s_waitcnt lgkmcnt(0)
	s_ashr_i32 s1, s0, 31
	s_lshl_b64 s[18:19], s[0:1], 19
	s_lshl_b64 s[0:1], s[0:1], 16
	s_and_b32 s6, s16, 31
	s_sub_u32 s10, s2, s0
	s_subb_u32 s11, s3, s1
	s_and_b32 s0, s2, 3
	s_mov_b32 s1, s7
	s_or_b64 s[0:1], s[6:7], s[0:1]
	s_cmp_eq_u64 s[0:1], 0
	s_cbranch_scc1 .LBB3_21
; %bb.1:
	v_cmp_lt_i64_e64 s[0:1], s[10:11], 1
	s_and_b64 vcc, exec, s[0:1]
	s_cbranch_vccnz .LBB3_20
; %bb.2:
	s_load_dword s0, s[4:5], 0xd4c
	v_mov_b32_e32 v2, 0x10000
	v_mov_b32_e32 v3, 0
	v_cmp_lt_u64_e32 vcc, s[10:11], v[2:3]
	v_lshlrev_b32_e32 v2, 3, v0
	s_waitcnt lgkmcnt(0)
	s_and_b32 s3, s0, 0xffff
	s_and_b64 s[0:1], vcc, exec
	s_cselect_b32 s21, s11, 0
	s_cselect_b32 s20, s10, 0x10000
	s_lshl_b32 s6, s3, 1
	s_lshl_b32 s26, s3, 2
	s_add_u32 s7, s16, s18
	s_addc_u32 s8, s17, s19
	v_mov_b32_e32 v3, s8
	v_add_co_u32_e32 v2, vcc, s7, v2
	s_mul_i32 s0, s3, 3
	v_addc_co_u32_e32 v3, vcc, 0, v3, vcc
	v_add_co_u32_e32 v16, vcc, s0, v0
	v_addc_co_u32_e64 v17, s[0:1], 0, 0, vcc
	v_add_co_u32_e32 v18, vcc, s6, v0
	v_addc_co_u32_e64 v19, s[0:1], 0, 0, vcc
	v_add_co_u32_e32 v20, vcc, s3, v0
	v_lshlrev_b32_e32 v4, 3, v20
	s_mov_b32 s2, 0
	v_addc_co_u32_e64 v21, s[0:1], 0, 0, vcc
	v_mov_b32_e32 v5, s8
	v_add_co_u32_e32 v4, vcc, s7, v4
	v_mov_b32_e32 v1, 0
	s_lshl_b32 s27, s3, 5
	s_mul_i32 s28, s3, 24
	s_mov_b32 s29, s2
	s_lshl_b32 s30, s3, 4
	s_mov_b32 s31, s2
	v_addc_co_u32_e32 v5, vcc, 0, v5, vcc
	s_mov_b64 s[22:23], 0
	v_pk_mov_b32 v[6:7], s[10:11], s[10:11] op_sel:[0,1]
	v_mov_b32_e32 v22, s2
	s_branch .LBB3_4
.LBB3_3:                                ;   in Loop: Header=BB3_4 Depth=1
	s_or_b64 exec, exec, s[0:1]
	s_add_u32 s22, s22, s26
	v_mov_b32_e32 v8, 0x10000
	s_addc_u32 s23, s23, 0
	v_mov_b32_e32 v9, 0
	v_cmp_lt_i64_e32 vcc, s[22:23], v[6:7]
	v_cmp_lt_u64_e64 s[0:1], s[22:23], v[8:9]
	s_and_b64 s[0:1], vcc, s[0:1]
	v_add_co_u32_e32 v2, vcc, s27, v2
	v_addc_co_u32_e32 v3, vcc, v3, v22, vcc
	v_add_co_u32_e32 v4, vcc, s27, v4
	v_addc_co_u32_e32 v5, vcc, v5, v22, vcc
	s_and_b64 vcc, exec, s[0:1]
	s_cbranch_vccz .LBB3_20
.LBB3_4:                                ; =>This Inner Loop Header: Depth=1
	v_mov_b32_e32 v9, s23
	v_add_co_u32_e32 v8, vcc, s22, v0
	v_addc_co_u32_e32 v9, vcc, 0, v9, vcc
	v_cmp_gt_u64_e32 vcc, s[20:21], v[8:9]
	v_pk_mov_b32 v[8:9], 0, 0
	v_pk_mov_b32 v[12:13], v[8:9], v[8:9] op_sel:[0,1]
	s_and_saveexec_b64 s[0:1], vcc
	s_cbranch_execz .LBB3_6
; %bb.5:                                ;   in Loop: Header=BB3_4 Depth=1
	global_load_dwordx2 v[12:13], v[2:3], off
.LBB3_6:                                ;   in Loop: Header=BB3_4 Depth=1
	s_or_b64 exec, exec, s[0:1]
	v_mov_b32_e32 v11, s23
	v_add_co_u32_e64 v10, s[0:1], s22, v20
	v_addc_co_u32_e64 v11, s[0:1], v21, v11, s[0:1]
	v_cmp_gt_u64_e64 s[0:1], s[20:21], v[10:11]
	s_and_saveexec_b64 s[2:3], s[0:1]
	s_cbranch_execz .LBB3_8
; %bb.7:                                ;   in Loop: Header=BB3_4 Depth=1
	global_load_dwordx2 v[8:9], v[4:5], off
.LBB3_8:                                ;   in Loop: Header=BB3_4 Depth=1
	s_or_b64 exec, exec, s[2:3]
	v_mov_b32_e32 v11, s23
	v_add_co_u32_e64 v10, s[2:3], s22, v18
	v_addc_co_u32_e64 v11, s[2:3], v19, v11, s[2:3]
	v_cmp_gt_u64_e64 s[2:3], s[20:21], v[10:11]
	v_pk_mov_b32 v[10:11], 0, 0
	v_pk_mov_b32 v[14:15], v[10:11], v[10:11] op_sel:[0,1]
	s_and_saveexec_b64 s[8:9], s[2:3]
	s_cbranch_execz .LBB3_10
; %bb.9:                                ;   in Loop: Header=BB3_4 Depth=1
	v_mov_b32_e32 v15, s31
	v_add_co_u32_e64 v14, s[6:7], s30, v2
	v_addc_co_u32_e64 v15, s[6:7], v3, v15, s[6:7]
	global_load_dwordx2 v[14:15], v[14:15], off
.LBB3_10:                               ;   in Loop: Header=BB3_4 Depth=1
	s_or_b64 exec, exec, s[8:9]
	v_mov_b32_e32 v23, s23
	v_add_co_u32_e64 v24, s[6:7], s22, v16
	v_addc_co_u32_e64 v25, s[6:7], v17, v23, s[6:7]
	v_cmp_gt_u64_e64 s[6:7], s[20:21], v[24:25]
	s_and_saveexec_b64 s[24:25], s[6:7]
	s_cbranch_execz .LBB3_12
; %bb.11:                               ;   in Loop: Header=BB3_4 Depth=1
	v_mov_b32_e32 v11, s29
	v_add_co_u32_e64 v10, s[8:9], s28, v2
	v_addc_co_u32_e64 v11, s[8:9], v3, v11, s[8:9]
	global_load_dwordx2 v[10:11], v[10:11], off
.LBB3_12:                               ;   in Loop: Header=BB3_4 Depth=1
	s_or_b64 exec, exec, s[24:25]
	global_load_dwordx2 v[24:25], v1, s[12:13]
	s_waitcnt vmcnt(0)
	v_readfirstlane_b32 s24, v24
	s_mul_i32 s8, s24, s15
	s_mul_hi_u32 s9, s24, s14
	v_mul_lo_u32 v23, v25, s14
	s_add_i32 s9, s9, s8
	v_add_u32_e32 v23, s9, v23
	s_mul_i32 s24, s24, s14
	s_and_saveexec_b64 s[8:9], vcc
	s_cbranch_execnz .LBB3_16
; %bb.13:                               ;   in Loop: Header=BB3_4 Depth=1
	s_or_b64 exec, exec, s[8:9]
	s_and_saveexec_b64 s[8:9], s[0:1]
	s_cbranch_execnz .LBB3_17
.LBB3_14:                               ;   in Loop: Header=BB3_4 Depth=1
	s_or_b64 exec, exec, s[8:9]
	s_and_saveexec_b64 s[0:1], s[2:3]
	s_cbranch_execnz .LBB3_18
.LBB3_15:                               ;   in Loop: Header=BB3_4 Depth=1
	s_or_b64 exec, exec, s[0:1]
	s_and_saveexec_b64 s[0:1], s[6:7]
	s_cbranch_execz .LBB3_3
	s_branch .LBB3_19
.LBB3_16:                               ;   in Loop: Header=BB3_4 Depth=1
	v_add_co_u32_e32 v12, vcc, s24, v12
	v_addc_co_u32_e32 v13, vcc, v23, v13, vcc
	global_store_dwordx2 v[2:3], v[12:13], off
	s_or_b64 exec, exec, s[8:9]
	s_and_saveexec_b64 s[8:9], s[0:1]
	s_cbranch_execz .LBB3_14
.LBB3_17:                               ;   in Loop: Header=BB3_4 Depth=1
	v_add_co_u32_e32 v8, vcc, s24, v8
	v_addc_co_u32_e32 v9, vcc, v23, v9, vcc
	global_store_dwordx2 v[4:5], v[8:9], off
	s_or_b64 exec, exec, s[8:9]
	s_and_saveexec_b64 s[0:1], s[2:3]
	s_cbranch_execz .LBB3_15
.LBB3_18:                               ;   in Loop: Header=BB3_4 Depth=1
	v_add_co_u32_e32 v8, vcc, s24, v14
	v_addc_co_u32_e32 v9, vcc, v23, v15, vcc
	v_mov_b32_e32 v13, s31
	v_add_co_u32_e32 v12, vcc, s30, v2
	v_addc_co_u32_e32 v13, vcc, v3, v13, vcc
	global_store_dwordx2 v[12:13], v[8:9], off
	s_or_b64 exec, exec, s[0:1]
	s_and_saveexec_b64 s[0:1], s[6:7]
	s_cbranch_execz .LBB3_3
.LBB3_19:                               ;   in Loop: Header=BB3_4 Depth=1
	v_add_co_u32_e32 v8, vcc, s24, v10
	v_addc_co_u32_e32 v9, vcc, v23, v11, vcc
	v_mov_b32_e32 v11, s29
	v_add_co_u32_e32 v10, vcc, s28, v2
	v_addc_co_u32_e32 v11, vcc, v3, v11, vcc
	global_store_dwordx2 v[10:11], v[8:9], off
	s_branch .LBB3_3
.LBB3_20:
	s_cbranch_execz .LBB3_22
	s_branch .LBB3_25
.LBB3_21:
.LBB3_22:
	v_mov_b32_e32 v3, 0
	v_lshlrev_b32_e32 v2, 2, v0
	s_mov_b32 s0, 0
	v_cmp_gt_i64_e32 vcc, s[10:11], v[2:3]
	s_and_saveexec_b64 s[2:3], vcc
	s_cbranch_execz .LBB3_25
; %bb.23:
	s_load_dword s1, s[4:5], 0xd4c
	v_lshlrev_b32_e32 v1, 5, v0
	s_mov_b64 s[4:5], 0
	s_mov_b64 s[6:7], 0xffff
	v_mov_b32_e32 v6, s0
	s_waitcnt lgkmcnt(0)
	s_and_b32 s1, s1, 0xffff
	s_lshl_b32 s8, s1, 2
	s_add_u32 s2, s16, s18
	s_addc_u32 s3, s17, s19
	v_add_lshl_u32 v2, v0, s1, 2
	v_mov_b32_e32 v0, s3
	v_add_co_u32_e32 v1, vcc, s2, v1
	v_addc_co_u32_e32 v4, vcc, 0, v0, vcc
	v_add_co_u32_e32 v0, vcc, 16, v1
	v_addc_co_u32_e32 v1, vcc, 0, v4, vcc
	s_lshl_b32 s9, s1, 5
	v_mov_b32_e32 v7, s0
	v_pk_mov_b32 v[4:5], v[2:3], v[2:3] op_sel:[0,1]
.LBB3_24:                               ; =>This Inner Loop Header: Depth=1
	global_load_dwordx4 v[8:11], v[0:1], off offset:-16
	global_load_dwordx2 v[16:17], v3, s[12:13]
	global_load_dwordx4 v[12:15], v[0:1], off
	v_cmp_le_i64_e32 vcc, s[10:11], v[4:5]
	v_cmp_lt_u64_e64 s[0:1], s[6:7], v[4:5]
	s_or_b64 s[0:1], vcc, s[0:1]
	s_and_b64 s[0:1], exec, s[0:1]
	s_or_b64 s[4:5], s[0:1], s[4:5]
	v_add_co_u32_e64 v4, s[2:3], s8, v4
	v_addc_co_u32_e64 v5, s[2:3], v5, v6, s[2:3]
	s_waitcnt vmcnt(1)
	v_mul_lo_u32 v2, v17, s14
	v_mul_lo_u32 v17, v16, s15
	v_mad_u64_u32 v[8:9], s[0:1], v16, s14, v[8:9]
	v_mad_u64_u32 v[10:11], s[0:1], v16, s14, v[10:11]
	v_add_u32_e32 v2, v17, v2
	s_waitcnt vmcnt(0)
	v_mad_u64_u32 v[12:13], s[0:1], v16, s14, v[12:13]
	v_mad_u64_u32 v[14:15], s[0:1], v16, s14, v[14:15]
	v_add_u32_e32 v9, v2, v9
	v_add_u32_e32 v11, v2, v11
	;; [unrolled: 1-line block ×4, first 2 shown]
	global_store_dwordx4 v[0:1], v[8:11], off offset:-16
	global_store_dwordx4 v[0:1], v[12:15], off
	v_add_co_u32_e32 v0, vcc, s9, v0
	v_addc_co_u32_e32 v1, vcc, v1, v7, vcc
	s_andn2_b64 exec, exec, s[4:5]
	s_cbranch_execnz .LBB3_24
.LBB3_25:
	s_endpgm
	.section	.rodata,"a",@progbits
	.p2align	6, 0x0
	.amdhsa_kernel _ZN2at6native12_GLOBAL__N_125multi_tensor_apply_kernelINS1_18TensorListMetadataILi1EEENS1_27BinaryOpScalarTensorFunctorIlLi1ELi1ELi0EEEJSt4plusIlEPllEEEvT_T0_DpT1_
		.amdhsa_group_segment_fixed_size 0
		.amdhsa_private_segment_fixed_size 0
		.amdhsa_kernarg_size 3648
		.amdhsa_user_sgpr_count 6
		.amdhsa_user_sgpr_private_segment_buffer 1
		.amdhsa_user_sgpr_dispatch_ptr 0
		.amdhsa_user_sgpr_queue_ptr 0
		.amdhsa_user_sgpr_kernarg_segment_ptr 1
		.amdhsa_user_sgpr_dispatch_id 0
		.amdhsa_user_sgpr_flat_scratch_init 0
		.amdhsa_user_sgpr_kernarg_preload_length 0
		.amdhsa_user_sgpr_kernarg_preload_offset 0
		.amdhsa_user_sgpr_private_segment_size 0
		.amdhsa_uses_dynamic_stack 0
		.amdhsa_system_sgpr_private_segment_wavefront_offset 0
		.amdhsa_system_sgpr_workgroup_id_x 1
		.amdhsa_system_sgpr_workgroup_id_y 0
		.amdhsa_system_sgpr_workgroup_id_z 0
		.amdhsa_system_sgpr_workgroup_info 0
		.amdhsa_system_vgpr_workitem_id 0
		.amdhsa_next_free_vgpr 26
		.amdhsa_next_free_sgpr 32
		.amdhsa_accum_offset 28
		.amdhsa_reserve_vcc 1
		.amdhsa_reserve_flat_scratch 0
		.amdhsa_float_round_mode_32 0
		.amdhsa_float_round_mode_16_64 0
		.amdhsa_float_denorm_mode_32 3
		.amdhsa_float_denorm_mode_16_64 3
		.amdhsa_dx10_clamp 1
		.amdhsa_ieee_mode 1
		.amdhsa_fp16_overflow 0
		.amdhsa_tg_split 0
		.amdhsa_exception_fp_ieee_invalid_op 0
		.amdhsa_exception_fp_denorm_src 0
		.amdhsa_exception_fp_ieee_div_zero 0
		.amdhsa_exception_fp_ieee_overflow 0
		.amdhsa_exception_fp_ieee_underflow 0
		.amdhsa_exception_fp_ieee_inexact 0
		.amdhsa_exception_int_div_zero 0
	.end_amdhsa_kernel
	.section	.text._ZN2at6native12_GLOBAL__N_125multi_tensor_apply_kernelINS1_18TensorListMetadataILi1EEENS1_27BinaryOpScalarTensorFunctorIlLi1ELi1ELi0EEEJSt4plusIlEPllEEEvT_T0_DpT1_,"axG",@progbits,_ZN2at6native12_GLOBAL__N_125multi_tensor_apply_kernelINS1_18TensorListMetadataILi1EEENS1_27BinaryOpScalarTensorFunctorIlLi1ELi1ELi0EEEJSt4plusIlEPllEEEvT_T0_DpT1_,comdat
.Lfunc_end3:
	.size	_ZN2at6native12_GLOBAL__N_125multi_tensor_apply_kernelINS1_18TensorListMetadataILi1EEENS1_27BinaryOpScalarTensorFunctorIlLi1ELi1ELi0EEEJSt4plusIlEPllEEEvT_T0_DpT1_, .Lfunc_end3-_ZN2at6native12_GLOBAL__N_125multi_tensor_apply_kernelINS1_18TensorListMetadataILi1EEENS1_27BinaryOpScalarTensorFunctorIlLi1ELi1ELi0EEEJSt4plusIlEPllEEEvT_T0_DpT1_
                                        ; -- End function
	.section	.AMDGPU.csdata,"",@progbits
; Kernel info:
; codeLenInByte = 1176
; NumSgprs: 36
; NumVgprs: 26
; NumAgprs: 0
; TotalNumVgprs: 26
; ScratchSize: 0
; MemoryBound: 0
; FloatMode: 240
; IeeeMode: 1
; LDSByteSize: 0 bytes/workgroup (compile time only)
; SGPRBlocks: 4
; VGPRBlocks: 3
; NumSGPRsForWavesPerEU: 36
; NumVGPRsForWavesPerEU: 26
; AccumOffset: 28
; Occupancy: 8
; WaveLimiterHint : 0
; COMPUTE_PGM_RSRC2:SCRATCH_EN: 0
; COMPUTE_PGM_RSRC2:USER_SGPR: 6
; COMPUTE_PGM_RSRC2:TRAP_HANDLER: 0
; COMPUTE_PGM_RSRC2:TGID_X_EN: 1
; COMPUTE_PGM_RSRC2:TGID_Y_EN: 0
; COMPUTE_PGM_RSRC2:TGID_Z_EN: 0
; COMPUTE_PGM_RSRC2:TIDIG_COMP_CNT: 0
; COMPUTE_PGM_RSRC3_GFX90A:ACCUM_OFFSET: 6
; COMPUTE_PGM_RSRC3_GFX90A:TG_SPLIT: 0
	.section	.text._ZN2at6native12_GLOBAL__N_125multi_tensor_apply_kernelINS1_18TensorListMetadataILi1EEENS1_27BinaryOpScalarTensorFunctorIsLi1ELi1ELi0EEEJSt4plusIsEPssEEEvT_T0_DpT1_,"axG",@progbits,_ZN2at6native12_GLOBAL__N_125multi_tensor_apply_kernelINS1_18TensorListMetadataILi1EEENS1_27BinaryOpScalarTensorFunctorIsLi1ELi1ELi0EEEJSt4plusIsEPssEEEvT_T0_DpT1_,comdat
	.globl	_ZN2at6native12_GLOBAL__N_125multi_tensor_apply_kernelINS1_18TensorListMetadataILi1EEENS1_27BinaryOpScalarTensorFunctorIsLi1ELi1ELi0EEEJSt4plusIsEPssEEEvT_T0_DpT1_ ; -- Begin function _ZN2at6native12_GLOBAL__N_125multi_tensor_apply_kernelINS1_18TensorListMetadataILi1EEENS1_27BinaryOpScalarTensorFunctorIsLi1ELi1ELi0EEEJSt4plusIsEPssEEEvT_T0_DpT1_
	.p2align	8
	.type	_ZN2at6native12_GLOBAL__N_125multi_tensor_apply_kernelINS1_18TensorListMetadataILi1EEENS1_27BinaryOpScalarTensorFunctorIsLi1ELi1ELi0EEEJSt4plusIsEPssEEEvT_T0_DpT1_,@function
_ZN2at6native12_GLOBAL__N_125multi_tensor_apply_kernelINS1_18TensorListMetadataILi1EEENS1_27BinaryOpScalarTensorFunctorIsLi1ELi1ELi0EEEJSt4plusIsEPssEEEvT_T0_DpT1_: ; @_ZN2at6native12_GLOBAL__N_125multi_tensor_apply_kernelINS1_18TensorListMetadataILi1EEENS1_27BinaryOpScalarTensorFunctorIsLi1ELi1ELi0EEEJSt4plusIsEPssEEEvT_T0_DpT1_
; %bb.0:
	v_mov_b32_e32 v1, s6
	global_load_ubyte v1, v1, s[4:5] offset:1760
	s_add_u32 s0, s4, s6
	s_mul_hi_u32 s1, s6, 3
	s_mul_i32 s6, s6, 3
	s_addc_u32 s2, s5, 0
	s_add_u32 s0, s0, s6
	s_addc_u32 s1, s2, s1
	s_load_dword s0, s[0:1], 0x820
	s_mov_b32 s7, 0
	s_load_dword s24, s[4:5], 0xd38
	s_waitcnt vmcnt(0)
	v_readfirstlane_b32 s1, v1
	s_lshl_b32 s1, s1, 3
	s_load_dwordx2 s[10:11], s[4:5], 0xd30
	s_load_dwordx2 s[2:3], s[4:5], s1 offset:0x370
	s_load_dwordx2 s[14:15], s[4:5], s1 offset:0x0
	s_waitcnt lgkmcnt(0)
	s_ashr_i32 s1, s0, 31
	s_lshl_b64 s[16:17], s[0:1], 17
	s_lshl_b64 s[0:1], s[0:1], 16
	s_and_b32 s6, s14, 7
	s_sub_u32 s12, s2, s0
	s_subb_u32 s13, s3, s1
	s_and_b32 s0, s2, 3
	s_mov_b32 s1, s7
	s_or_b64 s[0:1], s[6:7], s[0:1]
	s_cmp_eq_u64 s[0:1], 0
	s_cbranch_scc1 .LBB4_21
; %bb.1:
	v_cmp_lt_i64_e64 s[0:1], s[12:13], 1
	s_and_b64 vcc, exec, s[0:1]
	s_cbranch_vccnz .LBB4_20
; %bb.2:
	s_load_dword s0, s[4:5], 0xd4c
	v_mov_b32_e32 v2, 0x10000
	v_mov_b32_e32 v3, 0
	v_cmp_lt_u64_e32 vcc, s[12:13], v[2:3]
	v_lshlrev_b32_e32 v4, 1, v0
	s_waitcnt lgkmcnt(0)
	s_and_b32 s2, s0, 0xffff
	s_and_b64 s[0:1], vcc, exec
	s_cselect_b32 s19, s13, 0
	s_cselect_b32 s18, s12, 0x10000
	s_lshl_b32 s3, s2, 1
	s_lshl_b32 s26, s2, 2
	s_and_b32 s27, 0xffff, s24
	s_add_u32 s6, s14, s16
	s_addc_u32 s7, s15, s17
	v_mov_b32_e32 v5, s7
	v_add_co_u32_e32 v4, vcc, s6, v4
	s_mul_i32 s0, s2, 3
	v_addc_co_u32_e32 v5, vcc, 0, v5, vcc
	v_add_co_u32_e32 v10, vcc, s0, v0
	v_addc_co_u32_e64 v11, s[0:1], 0, 0, vcc
	v_add_co_u32_e32 v12, vcc, s3, v0
	v_addc_co_u32_e64 v13, s[0:1], 0, 0, vcc
	v_add_co_u32_e32 v14, vcc, s2, v0
	v_lshlrev_b32_e32 v6, 1, v14
	s_mov_b32 s25, 0
	v_addc_co_u32_e64 v15, s[0:1], 0, 0, vcc
	v_mov_b32_e32 v7, s7
	v_add_co_u32_e32 v6, vcc, s6, v6
	v_mov_b32_e32 v1, 0
	s_lshl_b32 s28, s2, 3
	s_mul_i32 s29, s2, 6
	s_mov_b32 s30, s25
	v_addc_co_u32_e32 v7, vcc, 0, v7, vcc
	s_mov_b64 s[20:21], 0
	v_pk_mov_b32 v[8:9], s[12:13], s[12:13] op_sel:[0,1]
	v_mov_b32_e32 v16, s25
	s_branch .LBB4_4
.LBB4_3:                                ;   in Loop: Header=BB4_4 Depth=1
	s_or_b64 exec, exec, s[0:1]
	s_add_u32 s20, s20, s26
	s_addc_u32 s21, s21, 0
	v_cmp_lt_i64_e32 vcc, s[20:21], v[8:9]
	v_cmp_lt_u64_e64 s[0:1], s[20:21], v[2:3]
	s_and_b64 s[0:1], vcc, s[0:1]
	v_add_co_u32_e32 v4, vcc, s28, v4
	v_addc_co_u32_e32 v5, vcc, v5, v16, vcc
	v_add_co_u32_e32 v6, vcc, s28, v6
	v_addc_co_u32_e32 v7, vcc, v7, v16, vcc
	s_and_b64 vcc, exec, s[0:1]
	s_cbranch_vccz .LBB4_20
.LBB4_4:                                ; =>This Inner Loop Header: Depth=1
	v_mov_b32_e32 v17, s21
	v_add_co_u32_e32 v18, vcc, s20, v0
	v_addc_co_u32_e32 v19, vcc, 0, v17, vcc
	v_cmp_gt_u64_e32 vcc, s[18:19], v[18:19]
	v_mov_b32_e32 v17, 0
	s_and_saveexec_b64 s[0:1], vcc
	s_cbranch_execz .LBB4_6
; %bb.5:                                ;   in Loop: Header=BB4_4 Depth=1
	global_load_ushort v17, v[4:5], off
.LBB4_6:                                ;   in Loop: Header=BB4_4 Depth=1
	s_or_b64 exec, exec, s[0:1]
	v_mov_b32_e32 v19, s21
	v_add_co_u32_e64 v18, s[0:1], s20, v14
	v_addc_co_u32_e64 v19, s[0:1], v15, v19, s[0:1]
	v_cmp_gt_u64_e64 s[0:1], s[18:19], v[18:19]
	v_mov_b32_e32 v18, 0
	v_mov_b32_e32 v19, 0
	s_and_saveexec_b64 s[2:3], s[0:1]
	s_cbranch_execz .LBB4_8
; %bb.7:                                ;   in Loop: Header=BB4_4 Depth=1
	global_load_ushort v19, v[6:7], off
.LBB4_8:                                ;   in Loop: Header=BB4_4 Depth=1
	s_or_b64 exec, exec, s[2:3]
	v_mov_b32_e32 v21, s21
	v_add_co_u32_e64 v20, s[2:3], s20, v12
	v_addc_co_u32_e64 v21, s[2:3], v13, v21, s[2:3]
	v_cmp_gt_u64_e64 s[2:3], s[18:19], v[20:21]
	s_and_saveexec_b64 s[8:9], s[2:3]
	s_cbranch_execz .LBB4_10
; %bb.9:                                ;   in Loop: Header=BB4_4 Depth=1
	v_mov_b32_e32 v18, s25
	v_add_co_u32_e64 v20, s[6:7], s26, v4
	v_addc_co_u32_e64 v21, s[6:7], v5, v18, s[6:7]
	global_load_ushort v18, v[20:21], off
.LBB4_10:                               ;   in Loop: Header=BB4_4 Depth=1
	s_or_b64 exec, exec, s[8:9]
	v_mov_b32_e32 v21, s21
	v_add_co_u32_e64 v20, s[6:7], s20, v10
	v_addc_co_u32_e64 v21, s[6:7], v11, v21, s[6:7]
	v_cmp_gt_u64_e64 s[6:7], s[18:19], v[20:21]
	v_mov_b32_e32 v20, 0
	s_and_saveexec_b64 s[22:23], s[6:7]
	s_cbranch_execz .LBB4_12
; %bb.11:                               ;   in Loop: Header=BB4_4 Depth=1
	v_mov_b32_e32 v21, s30
	v_add_co_u32_e64 v20, s[8:9], s29, v4
	v_addc_co_u32_e64 v21, s[8:9], v5, v21, s[8:9]
	global_load_ushort v20, v[20:21], off
.LBB4_12:                               ;   in Loop: Header=BB4_4 Depth=1
	s_or_b64 exec, exec, s[22:23]
	global_load_ushort v21, v1, s[10:11]
	s_waitcnt vmcnt(0)
	v_mul_lo_u32 v21, v21, s27
	s_and_saveexec_b64 s[8:9], vcc
	s_cbranch_execnz .LBB4_16
; %bb.13:                               ;   in Loop: Header=BB4_4 Depth=1
	s_or_b64 exec, exec, s[8:9]
	s_and_saveexec_b64 s[8:9], s[0:1]
	s_cbranch_execnz .LBB4_17
.LBB4_14:                               ;   in Loop: Header=BB4_4 Depth=1
	s_or_b64 exec, exec, s[8:9]
	s_and_saveexec_b64 s[0:1], s[2:3]
	s_cbranch_execnz .LBB4_18
.LBB4_15:                               ;   in Loop: Header=BB4_4 Depth=1
	s_or_b64 exec, exec, s[0:1]
	s_and_saveexec_b64 s[0:1], s[6:7]
	s_cbranch_execz .LBB4_3
	s_branch .LBB4_19
.LBB4_16:                               ;   in Loop: Header=BB4_4 Depth=1
	v_add_u16_e32 v17, v21, v17
	global_store_short v[4:5], v17, off
	s_or_b64 exec, exec, s[8:9]
	s_and_saveexec_b64 s[8:9], s[0:1]
	s_cbranch_execz .LBB4_14
.LBB4_17:                               ;   in Loop: Header=BB4_4 Depth=1
	v_add_u16_e32 v17, v21, v19
	global_store_short v[6:7], v17, off
	s_or_b64 exec, exec, s[8:9]
	s_and_saveexec_b64 s[0:1], s[2:3]
	s_cbranch_execz .LBB4_15
.LBB4_18:                               ;   in Loop: Header=BB4_4 Depth=1
	v_add_u16_e32 v17, v21, v18
	v_mov_b32_e32 v19, s25
	v_add_co_u32_e32 v18, vcc, s26, v4
	v_addc_co_u32_e32 v19, vcc, v5, v19, vcc
	global_store_short v[18:19], v17, off
	s_or_b64 exec, exec, s[0:1]
	s_and_saveexec_b64 s[0:1], s[6:7]
	s_cbranch_execz .LBB4_3
.LBB4_19:                               ;   in Loop: Header=BB4_4 Depth=1
	v_mov_b32_e32 v19, s30
	v_add_co_u32_e32 v18, vcc, s29, v4
	v_add_u16_e32 v17, v21, v20
	v_addc_co_u32_e32 v19, vcc, v5, v19, vcc
	global_store_short v[18:19], v17, off
	s_branch .LBB4_3
.LBB4_20:
	s_cbranch_execz .LBB4_22
	s_branch .LBB4_25
.LBB4_21:
.LBB4_22:
	v_mov_b32_e32 v3, 0
	v_lshlrev_b32_e32 v2, 2, v0
	s_mov_b32 s0, 0
	v_cmp_gt_i64_e32 vcc, s[12:13], v[2:3]
	s_and_saveexec_b64 s[2:3], vcc
	s_cbranch_execz .LBB4_25
; %bb.23:
	s_load_dword s1, s[4:5], 0xd4c
	s_and_b32 s6, 0xffff, s24
	v_lshlrev_b32_e32 v1, 3, v0
	s_mov_b64 s[4:5], 0xffff
	v_mov_b32_e32 v6, s0
	s_waitcnt lgkmcnt(0)
	s_and_b32 s1, s1, 0xffff
	s_add_u32 s2, s14, s16
	s_addc_u32 s3, s15, s17
	v_mov_b32_e32 v2, s3
	v_add_co_u32_e32 v4, vcc, s2, v1
	v_addc_co_u32_e32 v5, vcc, 0, v2, vcc
	v_add_lshl_u32 v2, v0, s1, 2
	s_lshl_b32 s7, s1, 3
	s_lshl_b32 s8, s1, 2
	s_mov_b64 s[2:3], 0
	v_mov_b32_e32 v7, s0
	v_pk_mov_b32 v[0:1], v[2:3], v[2:3] op_sel:[0,1]
.LBB4_24:                               ; =>This Inner Loop Header: Depth=1
	global_load_ushort v2, v3, s[10:11]
	global_load_dwordx2 v[8:9], v[4:5], off
	v_cmp_le_i64_e32 vcc, s[12:13], v[0:1]
	v_cmp_lt_u64_e64 s[0:1], s[4:5], v[0:1]
	s_or_b64 s[0:1], vcc, s[0:1]
	s_and_b64 s[0:1], exec, s[0:1]
	s_or_b64 s[2:3], s[0:1], s[2:3]
	s_waitcnt vmcnt(1)
	v_mul_lo_u32 v2, v2, s6
	s_waitcnt vmcnt(0)
	v_add_u16_sdwa v10, v2, v8 dst_sel:WORD_1 dst_unused:UNUSED_PAD src0_sel:DWORD src1_sel:WORD_1
	v_add_u16_sdwa v11, v2, v9 dst_sel:WORD_1 dst_unused:UNUSED_PAD src0_sel:DWORD src1_sel:WORD_1
	v_add_u16_e32 v9, v2, v9
	v_add_u16_e32 v2, v2, v8
	v_or_b32_e32 v9, v11, v9
	v_or_b32_e32 v8, v10, v2
	global_store_dwordx2 v[4:5], v[8:9], off
	v_add_co_u32_e32 v4, vcc, s7, v4
	v_addc_co_u32_e32 v5, vcc, v5, v6, vcc
	v_add_co_u32_e32 v0, vcc, s8, v0
	v_addc_co_u32_e32 v1, vcc, v1, v7, vcc
	s_andn2_b64 exec, exec, s[2:3]
	s_cbranch_execnz .LBB4_24
.LBB4_25:
	s_endpgm
	.section	.rodata,"a",@progbits
	.p2align	6, 0x0
	.amdhsa_kernel _ZN2at6native12_GLOBAL__N_125multi_tensor_apply_kernelINS1_18TensorListMetadataILi1EEENS1_27BinaryOpScalarTensorFunctorIsLi1ELi1ELi0EEEJSt4plusIsEPssEEEvT_T0_DpT1_
		.amdhsa_group_segment_fixed_size 0
		.amdhsa_private_segment_fixed_size 0
		.amdhsa_kernarg_size 3648
		.amdhsa_user_sgpr_count 6
		.amdhsa_user_sgpr_private_segment_buffer 1
		.amdhsa_user_sgpr_dispatch_ptr 0
		.amdhsa_user_sgpr_queue_ptr 0
		.amdhsa_user_sgpr_kernarg_segment_ptr 1
		.amdhsa_user_sgpr_dispatch_id 0
		.amdhsa_user_sgpr_flat_scratch_init 0
		.amdhsa_user_sgpr_kernarg_preload_length 0
		.amdhsa_user_sgpr_kernarg_preload_offset 0
		.amdhsa_user_sgpr_private_segment_size 0
		.amdhsa_uses_dynamic_stack 0
		.amdhsa_system_sgpr_private_segment_wavefront_offset 0
		.amdhsa_system_sgpr_workgroup_id_x 1
		.amdhsa_system_sgpr_workgroup_id_y 0
		.amdhsa_system_sgpr_workgroup_id_z 0
		.amdhsa_system_sgpr_workgroup_info 0
		.amdhsa_system_vgpr_workitem_id 0
		.amdhsa_next_free_vgpr 22
		.amdhsa_next_free_sgpr 31
		.amdhsa_accum_offset 24
		.amdhsa_reserve_vcc 1
		.amdhsa_reserve_flat_scratch 0
		.amdhsa_float_round_mode_32 0
		.amdhsa_float_round_mode_16_64 0
		.amdhsa_float_denorm_mode_32 3
		.amdhsa_float_denorm_mode_16_64 3
		.amdhsa_dx10_clamp 1
		.amdhsa_ieee_mode 1
		.amdhsa_fp16_overflow 0
		.amdhsa_tg_split 0
		.amdhsa_exception_fp_ieee_invalid_op 0
		.amdhsa_exception_fp_denorm_src 0
		.amdhsa_exception_fp_ieee_div_zero 0
		.amdhsa_exception_fp_ieee_overflow 0
		.amdhsa_exception_fp_ieee_underflow 0
		.amdhsa_exception_fp_ieee_inexact 0
		.amdhsa_exception_int_div_zero 0
	.end_amdhsa_kernel
	.section	.text._ZN2at6native12_GLOBAL__N_125multi_tensor_apply_kernelINS1_18TensorListMetadataILi1EEENS1_27BinaryOpScalarTensorFunctorIsLi1ELi1ELi0EEEJSt4plusIsEPssEEEvT_T0_DpT1_,"axG",@progbits,_ZN2at6native12_GLOBAL__N_125multi_tensor_apply_kernelINS1_18TensorListMetadataILi1EEENS1_27BinaryOpScalarTensorFunctorIsLi1ELi1ELi0EEEJSt4plusIsEPssEEEvT_T0_DpT1_,comdat
.Lfunc_end4:
	.size	_ZN2at6native12_GLOBAL__N_125multi_tensor_apply_kernelINS1_18TensorListMetadataILi1EEENS1_27BinaryOpScalarTensorFunctorIsLi1ELi1ELi0EEEJSt4plusIsEPssEEEvT_T0_DpT1_, .Lfunc_end4-_ZN2at6native12_GLOBAL__N_125multi_tensor_apply_kernelINS1_18TensorListMetadataILi1EEENS1_27BinaryOpScalarTensorFunctorIsLi1ELi1ELi0EEEJSt4plusIsEPssEEEvT_T0_DpT1_
                                        ; -- End function
	.section	.AMDGPU.csdata,"",@progbits
; Kernel info:
; codeLenInByte = 1064
; NumSgprs: 35
; NumVgprs: 22
; NumAgprs: 0
; TotalNumVgprs: 22
; ScratchSize: 0
; MemoryBound: 0
; FloatMode: 240
; IeeeMode: 1
; LDSByteSize: 0 bytes/workgroup (compile time only)
; SGPRBlocks: 4
; VGPRBlocks: 2
; NumSGPRsForWavesPerEU: 35
; NumVGPRsForWavesPerEU: 22
; AccumOffset: 24
; Occupancy: 8
; WaveLimiterHint : 0
; COMPUTE_PGM_RSRC2:SCRATCH_EN: 0
; COMPUTE_PGM_RSRC2:USER_SGPR: 6
; COMPUTE_PGM_RSRC2:TRAP_HANDLER: 0
; COMPUTE_PGM_RSRC2:TGID_X_EN: 1
; COMPUTE_PGM_RSRC2:TGID_Y_EN: 0
; COMPUTE_PGM_RSRC2:TGID_Z_EN: 0
; COMPUTE_PGM_RSRC2:TIDIG_COMP_CNT: 0
; COMPUTE_PGM_RSRC3_GFX90A:ACCUM_OFFSET: 5
; COMPUTE_PGM_RSRC3_GFX90A:TG_SPLIT: 0
	.section	.text._ZN2at6native12_GLOBAL__N_125multi_tensor_apply_kernelINS1_18TensorListMetadataILi1EEENS1_27BinaryOpScalarTensorFunctorIdLi1ELi1ELi0EEEJSt4plusIdEPddEEEvT_T0_DpT1_,"axG",@progbits,_ZN2at6native12_GLOBAL__N_125multi_tensor_apply_kernelINS1_18TensorListMetadataILi1EEENS1_27BinaryOpScalarTensorFunctorIdLi1ELi1ELi0EEEJSt4plusIdEPddEEEvT_T0_DpT1_,comdat
	.globl	_ZN2at6native12_GLOBAL__N_125multi_tensor_apply_kernelINS1_18TensorListMetadataILi1EEENS1_27BinaryOpScalarTensorFunctorIdLi1ELi1ELi0EEEJSt4plusIdEPddEEEvT_T0_DpT1_ ; -- Begin function _ZN2at6native12_GLOBAL__N_125multi_tensor_apply_kernelINS1_18TensorListMetadataILi1EEENS1_27BinaryOpScalarTensorFunctorIdLi1ELi1ELi0EEEJSt4plusIdEPddEEEvT_T0_DpT1_
	.p2align	8
	.type	_ZN2at6native12_GLOBAL__N_125multi_tensor_apply_kernelINS1_18TensorListMetadataILi1EEENS1_27BinaryOpScalarTensorFunctorIdLi1ELi1ELi0EEEJSt4plusIdEPddEEEvT_T0_DpT1_,@function
_ZN2at6native12_GLOBAL__N_125multi_tensor_apply_kernelINS1_18TensorListMetadataILi1EEENS1_27BinaryOpScalarTensorFunctorIdLi1ELi1ELi0EEEJSt4plusIdEPddEEEvT_T0_DpT1_: ; @_ZN2at6native12_GLOBAL__N_125multi_tensor_apply_kernelINS1_18TensorListMetadataILi1EEENS1_27BinaryOpScalarTensorFunctorIdLi1ELi1ELi0EEEJSt4plusIdEPddEEEvT_T0_DpT1_
; %bb.0:
	v_mov_b32_e32 v1, s6
	global_load_ubyte v1, v1, s[4:5] offset:1760
	s_add_u32 s0, s4, s6
	s_mul_hi_u32 s1, s6, 3
	s_mul_i32 s6, s6, 3
	s_addc_u32 s2, s5, 0
	s_add_u32 s0, s0, s6
	s_addc_u32 s1, s2, s1
	s_load_dword s0, s[0:1], 0x820
	s_mov_b32 s7, 0
	s_load_dwordx4 s[12:15], s[4:5], 0xd30
	s_waitcnt vmcnt(0)
	v_readfirstlane_b32 s1, v1
	s_lshl_b32 s1, s1, 3
	s_load_dwordx2 s[2:3], s[4:5], s1 offset:0x370
	s_load_dwordx2 s[16:17], s[4:5], s1 offset:0x0
	s_waitcnt lgkmcnt(0)
	s_ashr_i32 s1, s0, 31
	s_lshl_b64 s[18:19], s[0:1], 19
	s_lshl_b64 s[0:1], s[0:1], 16
	s_and_b32 s6, s16, 31
	s_sub_u32 s10, s2, s0
	s_subb_u32 s11, s3, s1
	s_and_b32 s0, s2, 3
	s_mov_b32 s1, s7
	s_or_b64 s[0:1], s[6:7], s[0:1]
	s_cmp_eq_u64 s[0:1], 0
	s_cbranch_scc1 .LBB5_21
; %bb.1:
	v_cmp_lt_i64_e64 s[0:1], s[10:11], 1
	s_and_b64 vcc, exec, s[0:1]
	s_cbranch_vccnz .LBB5_20
; %bb.2:
	s_load_dword s0, s[4:5], 0xd4c
	v_mov_b32_e32 v2, 0x10000
	v_mov_b32_e32 v3, 0
	v_cmp_lt_u64_e32 vcc, s[10:11], v[2:3]
	v_lshlrev_b32_e32 v2, 3, v0
	s_waitcnt lgkmcnt(0)
	s_and_b32 s3, s0, 0xffff
	s_and_b64 s[0:1], vcc, exec
	s_cselect_b32 s21, s11, 0
	s_cselect_b32 s20, s10, 0x10000
	s_lshl_b32 s6, s3, 1
	s_lshl_b32 s26, s3, 2
	s_add_u32 s7, s16, s18
	s_addc_u32 s8, s17, s19
	v_mov_b32_e32 v3, s8
	v_add_co_u32_e32 v2, vcc, s7, v2
	s_mul_i32 s0, s3, 3
	v_addc_co_u32_e32 v3, vcc, 0, v3, vcc
	v_add_co_u32_e32 v18, vcc, s0, v0
	v_addc_co_u32_e64 v19, s[0:1], 0, 0, vcc
	v_add_co_u32_e32 v20, vcc, s6, v0
	v_addc_co_u32_e64 v21, s[0:1], 0, 0, vcc
	v_add_co_u32_e32 v22, vcc, s3, v0
	v_lshlrev_b32_e32 v4, 3, v22
	s_mov_b32 s2, 0
	v_addc_co_u32_e64 v23, s[0:1], 0, 0, vcc
	v_mov_b32_e32 v5, s8
	v_add_co_u32_e32 v4, vcc, s7, v4
	v_mov_b32_e32 v1, 0
	s_lshl_b32 s27, s3, 5
	s_mul_i32 s28, s3, 24
	s_mov_b32 s29, s2
	s_lshl_b32 s30, s3, 4
	s_mov_b32 s31, s2
	v_addc_co_u32_e32 v5, vcc, 0, v5, vcc
	s_mov_b64 s[22:23], 0
	v_pk_mov_b32 v[6:7], s[10:11], s[10:11] op_sel:[0,1]
	v_mov_b32_e32 v24, s2
	s_branch .LBB5_4
.LBB5_3:                                ;   in Loop: Header=BB5_4 Depth=1
	s_or_b64 exec, exec, s[0:1]
	s_add_u32 s22, s22, s26
	v_mov_b32_e32 v8, 0x10000
	s_addc_u32 s23, s23, 0
	v_mov_b32_e32 v9, 0
	v_cmp_lt_i64_e32 vcc, s[22:23], v[6:7]
	v_cmp_lt_u64_e64 s[0:1], s[22:23], v[8:9]
	s_and_b64 s[0:1], vcc, s[0:1]
	v_add_co_u32_e32 v2, vcc, s27, v2
	v_addc_co_u32_e32 v3, vcc, v3, v24, vcc
	v_add_co_u32_e32 v4, vcc, s27, v4
	v_addc_co_u32_e32 v5, vcc, v5, v24, vcc
	s_and_b64 vcc, exec, s[0:1]
	s_cbranch_vccz .LBB5_20
.LBB5_4:                                ; =>This Inner Loop Header: Depth=1
	v_mov_b32_e32 v9, s23
	v_add_co_u32_e32 v8, vcc, s22, v0
	v_addc_co_u32_e32 v9, vcc, 0, v9, vcc
	v_cmp_gt_u64_e32 vcc, s[20:21], v[8:9]
	v_pk_mov_b32 v[8:9], 0, 0
	v_pk_mov_b32 v[10:11], v[8:9], v[8:9] op_sel:[0,1]
	s_and_saveexec_b64 s[0:1], vcc
	s_cbranch_execz .LBB5_6
; %bb.5:                                ;   in Loop: Header=BB5_4 Depth=1
	global_load_dwordx2 v[10:11], v[2:3], off
.LBB5_6:                                ;   in Loop: Header=BB5_4 Depth=1
	s_or_b64 exec, exec, s[0:1]
	v_mov_b32_e32 v13, s23
	v_add_co_u32_e64 v12, s[0:1], s22, v22
	v_addc_co_u32_e64 v13, s[0:1], v23, v13, s[0:1]
	v_cmp_gt_u64_e64 s[0:1], s[20:21], v[12:13]
	s_and_saveexec_b64 s[2:3], s[0:1]
	s_cbranch_execz .LBB5_8
; %bb.7:                                ;   in Loop: Header=BB5_4 Depth=1
	global_load_dwordx2 v[8:9], v[4:5], off
.LBB5_8:                                ;   in Loop: Header=BB5_4 Depth=1
	s_or_b64 exec, exec, s[2:3]
	v_mov_b32_e32 v13, s23
	v_add_co_u32_e64 v12, s[2:3], s22, v20
	v_addc_co_u32_e64 v13, s[2:3], v21, v13, s[2:3]
	v_cmp_gt_u64_e64 s[2:3], s[20:21], v[12:13]
	v_pk_mov_b32 v[12:13], 0, 0
	v_pk_mov_b32 v[14:15], v[12:13], v[12:13] op_sel:[0,1]
	s_and_saveexec_b64 s[8:9], s[2:3]
	s_cbranch_execz .LBB5_10
; %bb.9:                                ;   in Loop: Header=BB5_4 Depth=1
	v_mov_b32_e32 v15, s31
	v_add_co_u32_e64 v14, s[6:7], s30, v2
	v_addc_co_u32_e64 v15, s[6:7], v3, v15, s[6:7]
	global_load_dwordx2 v[14:15], v[14:15], off
.LBB5_10:                               ;   in Loop: Header=BB5_4 Depth=1
	s_or_b64 exec, exec, s[8:9]
	v_mov_b32_e32 v17, s23
	v_add_co_u32_e64 v16, s[6:7], s22, v18
	v_addc_co_u32_e64 v17, s[6:7], v19, v17, s[6:7]
	v_cmp_gt_u64_e64 s[6:7], s[20:21], v[16:17]
	s_and_saveexec_b64 s[24:25], s[6:7]
	s_cbranch_execz .LBB5_12
; %bb.11:                               ;   in Loop: Header=BB5_4 Depth=1
	v_mov_b32_e32 v13, s29
	v_add_co_u32_e64 v12, s[8:9], s28, v2
	v_addc_co_u32_e64 v13, s[8:9], v3, v13, s[8:9]
	global_load_dwordx2 v[12:13], v[12:13], off
.LBB5_12:                               ;   in Loop: Header=BB5_4 Depth=1
	s_or_b64 exec, exec, s[24:25]
	global_load_dwordx2 v[16:17], v1, s[12:13]
	s_waitcnt vmcnt(0)
	v_mul_f64 v[16:17], v[16:17], s[14:15]
	s_and_saveexec_b64 s[8:9], vcc
	s_cbranch_execnz .LBB5_16
; %bb.13:                               ;   in Loop: Header=BB5_4 Depth=1
	s_or_b64 exec, exec, s[8:9]
	s_and_saveexec_b64 s[8:9], s[0:1]
	s_cbranch_execnz .LBB5_17
.LBB5_14:                               ;   in Loop: Header=BB5_4 Depth=1
	s_or_b64 exec, exec, s[8:9]
	s_and_saveexec_b64 s[0:1], s[2:3]
	s_cbranch_execnz .LBB5_18
.LBB5_15:                               ;   in Loop: Header=BB5_4 Depth=1
	s_or_b64 exec, exec, s[0:1]
	s_and_saveexec_b64 s[0:1], s[6:7]
	s_cbranch_execz .LBB5_3
	s_branch .LBB5_19
.LBB5_16:                               ;   in Loop: Header=BB5_4 Depth=1
	v_add_f64 v[10:11], v[10:11], v[16:17]
	global_store_dwordx2 v[2:3], v[10:11], off
	s_or_b64 exec, exec, s[8:9]
	s_and_saveexec_b64 s[8:9], s[0:1]
	s_cbranch_execz .LBB5_14
.LBB5_17:                               ;   in Loop: Header=BB5_4 Depth=1
	v_add_f64 v[8:9], v[8:9], v[16:17]
	global_store_dwordx2 v[4:5], v[8:9], off
	s_or_b64 exec, exec, s[8:9]
	s_and_saveexec_b64 s[0:1], s[2:3]
	s_cbranch_execz .LBB5_15
.LBB5_18:                               ;   in Loop: Header=BB5_4 Depth=1
	v_mov_b32_e32 v11, s31
	v_add_co_u32_e32 v10, vcc, s30, v2
	v_add_f64 v[8:9], v[14:15], v[16:17]
	v_addc_co_u32_e32 v11, vcc, v3, v11, vcc
	global_store_dwordx2 v[10:11], v[8:9], off
	s_or_b64 exec, exec, s[0:1]
	s_and_saveexec_b64 s[0:1], s[6:7]
	s_cbranch_execz .LBB5_3
.LBB5_19:                               ;   in Loop: Header=BB5_4 Depth=1
	v_mov_b32_e32 v11, s29
	v_add_co_u32_e32 v10, vcc, s28, v2
	v_add_f64 v[8:9], v[12:13], v[16:17]
	v_addc_co_u32_e32 v11, vcc, v3, v11, vcc
	global_store_dwordx2 v[10:11], v[8:9], off
	s_branch .LBB5_3
.LBB5_20:
	s_cbranch_execz .LBB5_22
	s_branch .LBB5_25
.LBB5_21:
.LBB5_22:
	v_mov_b32_e32 v3, 0
	v_lshlrev_b32_e32 v2, 2, v0
	s_mov_b32 s0, 0
	v_cmp_gt_i64_e32 vcc, s[10:11], v[2:3]
	s_and_saveexec_b64 s[2:3], vcc
	s_cbranch_execz .LBB5_25
; %bb.23:
	s_load_dword s1, s[4:5], 0xd4c
	v_lshlrev_b32_e32 v1, 5, v0
	s_mov_b64 s[4:5], 0
	s_mov_b64 s[6:7], 0xffff
	v_mov_b32_e32 v6, s0
	s_waitcnt lgkmcnt(0)
	s_and_b32 s1, s1, 0xffff
	s_lshl_b32 s8, s1, 2
	s_add_u32 s2, s16, s18
	s_addc_u32 s3, s17, s19
	v_add_lshl_u32 v2, v0, s1, 2
	v_mov_b32_e32 v0, s3
	v_add_co_u32_e32 v1, vcc, s2, v1
	v_addc_co_u32_e32 v4, vcc, 0, v0, vcc
	v_add_co_u32_e32 v0, vcc, 16, v1
	v_addc_co_u32_e32 v1, vcc, 0, v4, vcc
	s_lshl_b32 s9, s1, 5
	v_mov_b32_e32 v7, s0
	v_pk_mov_b32 v[4:5], v[2:3], v[2:3] op_sel:[0,1]
.LBB5_24:                               ; =>This Inner Loop Header: Depth=1
	global_load_dwordx4 v[8:11], v[0:1], off offset:-16
	global_load_dwordx2 v[16:17], v3, s[12:13]
	global_load_dwordx4 v[12:15], v[0:1], off
	v_cmp_le_i64_e32 vcc, s[10:11], v[4:5]
	v_cmp_lt_u64_e64 s[0:1], s[6:7], v[4:5]
	s_or_b64 s[0:1], vcc, s[0:1]
	v_add_co_u32_e64 v4, s[2:3], s8, v4
	s_and_b64 s[0:1], exec, s[0:1]
	v_addc_co_u32_e64 v5, s[2:3], v5, v6, s[2:3]
	s_or_b64 s[4:5], s[0:1], s[4:5]
	s_waitcnt vmcnt(1)
	v_fmac_f64_e32 v[8:9], s[14:15], v[16:17]
	v_fmac_f64_e32 v[10:11], s[14:15], v[16:17]
	s_waitcnt vmcnt(0)
	v_fmac_f64_e32 v[12:13], s[14:15], v[16:17]
	v_fmac_f64_e32 v[14:15], s[14:15], v[16:17]
	global_store_dwordx4 v[0:1], v[8:11], off offset:-16
	global_store_dwordx4 v[0:1], v[12:15], off
	v_add_co_u32_e32 v0, vcc, s9, v0
	v_addc_co_u32_e32 v1, vcc, v1, v7, vcc
	s_andn2_b64 exec, exec, s[4:5]
	s_cbranch_execnz .LBB5_24
.LBB5_25:
	s_endpgm
	.section	.rodata,"a",@progbits
	.p2align	6, 0x0
	.amdhsa_kernel _ZN2at6native12_GLOBAL__N_125multi_tensor_apply_kernelINS1_18TensorListMetadataILi1EEENS1_27BinaryOpScalarTensorFunctorIdLi1ELi1ELi0EEEJSt4plusIdEPddEEEvT_T0_DpT1_
		.amdhsa_group_segment_fixed_size 0
		.amdhsa_private_segment_fixed_size 0
		.amdhsa_kernarg_size 3648
		.amdhsa_user_sgpr_count 6
		.amdhsa_user_sgpr_private_segment_buffer 1
		.amdhsa_user_sgpr_dispatch_ptr 0
		.amdhsa_user_sgpr_queue_ptr 0
		.amdhsa_user_sgpr_kernarg_segment_ptr 1
		.amdhsa_user_sgpr_dispatch_id 0
		.amdhsa_user_sgpr_flat_scratch_init 0
		.amdhsa_user_sgpr_kernarg_preload_length 0
		.amdhsa_user_sgpr_kernarg_preload_offset 0
		.amdhsa_user_sgpr_private_segment_size 0
		.amdhsa_uses_dynamic_stack 0
		.amdhsa_system_sgpr_private_segment_wavefront_offset 0
		.amdhsa_system_sgpr_workgroup_id_x 1
		.amdhsa_system_sgpr_workgroup_id_y 0
		.amdhsa_system_sgpr_workgroup_id_z 0
		.amdhsa_system_sgpr_workgroup_info 0
		.amdhsa_system_vgpr_workitem_id 0
		.amdhsa_next_free_vgpr 25
		.amdhsa_next_free_sgpr 32
		.amdhsa_accum_offset 28
		.amdhsa_reserve_vcc 1
		.amdhsa_reserve_flat_scratch 0
		.amdhsa_float_round_mode_32 0
		.amdhsa_float_round_mode_16_64 0
		.amdhsa_float_denorm_mode_32 3
		.amdhsa_float_denorm_mode_16_64 3
		.amdhsa_dx10_clamp 1
		.amdhsa_ieee_mode 1
		.amdhsa_fp16_overflow 0
		.amdhsa_tg_split 0
		.amdhsa_exception_fp_ieee_invalid_op 0
		.amdhsa_exception_fp_denorm_src 0
		.amdhsa_exception_fp_ieee_div_zero 0
		.amdhsa_exception_fp_ieee_overflow 0
		.amdhsa_exception_fp_ieee_underflow 0
		.amdhsa_exception_fp_ieee_inexact 0
		.amdhsa_exception_int_div_zero 0
	.end_amdhsa_kernel
	.section	.text._ZN2at6native12_GLOBAL__N_125multi_tensor_apply_kernelINS1_18TensorListMetadataILi1EEENS1_27BinaryOpScalarTensorFunctorIdLi1ELi1ELi0EEEJSt4plusIdEPddEEEvT_T0_DpT1_,"axG",@progbits,_ZN2at6native12_GLOBAL__N_125multi_tensor_apply_kernelINS1_18TensorListMetadataILi1EEENS1_27BinaryOpScalarTensorFunctorIdLi1ELi1ELi0EEEJSt4plusIdEPddEEEvT_T0_DpT1_,comdat
.Lfunc_end5:
	.size	_ZN2at6native12_GLOBAL__N_125multi_tensor_apply_kernelINS1_18TensorListMetadataILi1EEENS1_27BinaryOpScalarTensorFunctorIdLi1ELi1ELi0EEEJSt4plusIdEPddEEEvT_T0_DpT1_, .Lfunc_end5-_ZN2at6native12_GLOBAL__N_125multi_tensor_apply_kernelINS1_18TensorListMetadataILi1EEENS1_27BinaryOpScalarTensorFunctorIdLi1ELi1ELi0EEEJSt4plusIdEPddEEEvT_T0_DpT1_
                                        ; -- End function
	.section	.AMDGPU.csdata,"",@progbits
; Kernel info:
; codeLenInByte = 1100
; NumSgprs: 36
; NumVgprs: 25
; NumAgprs: 0
; TotalNumVgprs: 25
; ScratchSize: 0
; MemoryBound: 0
; FloatMode: 240
; IeeeMode: 1
; LDSByteSize: 0 bytes/workgroup (compile time only)
; SGPRBlocks: 4
; VGPRBlocks: 3
; NumSGPRsForWavesPerEU: 36
; NumVGPRsForWavesPerEU: 25
; AccumOffset: 28
; Occupancy: 8
; WaveLimiterHint : 0
; COMPUTE_PGM_RSRC2:SCRATCH_EN: 0
; COMPUTE_PGM_RSRC2:USER_SGPR: 6
; COMPUTE_PGM_RSRC2:TRAP_HANDLER: 0
; COMPUTE_PGM_RSRC2:TGID_X_EN: 1
; COMPUTE_PGM_RSRC2:TGID_Y_EN: 0
; COMPUTE_PGM_RSRC2:TGID_Z_EN: 0
; COMPUTE_PGM_RSRC2:TIDIG_COMP_CNT: 0
; COMPUTE_PGM_RSRC3_GFX90A:ACCUM_OFFSET: 6
; COMPUTE_PGM_RSRC3_GFX90A:TG_SPLIT: 0
	.section	.text._ZN2at6native12_GLOBAL__N_125multi_tensor_apply_kernelINS1_18TensorListMetadataILi1EEENS1_27BinaryOpScalarTensorFunctorIfLi1ELi1ELi0EEEJSt4plusIfEPffEEEvT_T0_DpT1_,"axG",@progbits,_ZN2at6native12_GLOBAL__N_125multi_tensor_apply_kernelINS1_18TensorListMetadataILi1EEENS1_27BinaryOpScalarTensorFunctorIfLi1ELi1ELi0EEEJSt4plusIfEPffEEEvT_T0_DpT1_,comdat
	.globl	_ZN2at6native12_GLOBAL__N_125multi_tensor_apply_kernelINS1_18TensorListMetadataILi1EEENS1_27BinaryOpScalarTensorFunctorIfLi1ELi1ELi0EEEJSt4plusIfEPffEEEvT_T0_DpT1_ ; -- Begin function _ZN2at6native12_GLOBAL__N_125multi_tensor_apply_kernelINS1_18TensorListMetadataILi1EEENS1_27BinaryOpScalarTensorFunctorIfLi1ELi1ELi0EEEJSt4plusIfEPffEEEvT_T0_DpT1_
	.p2align	8
	.type	_ZN2at6native12_GLOBAL__N_125multi_tensor_apply_kernelINS1_18TensorListMetadataILi1EEENS1_27BinaryOpScalarTensorFunctorIfLi1ELi1ELi0EEEJSt4plusIfEPffEEEvT_T0_DpT1_,@function
_ZN2at6native12_GLOBAL__N_125multi_tensor_apply_kernelINS1_18TensorListMetadataILi1EEENS1_27BinaryOpScalarTensorFunctorIfLi1ELi1ELi0EEEJSt4plusIfEPffEEEvT_T0_DpT1_: ; @_ZN2at6native12_GLOBAL__N_125multi_tensor_apply_kernelINS1_18TensorListMetadataILi1EEENS1_27BinaryOpScalarTensorFunctorIfLi1ELi1ELi0EEEJSt4plusIfEPffEEEvT_T0_DpT1_
; %bb.0:
	v_mov_b32_e32 v1, s6
	global_load_ubyte v1, v1, s[4:5] offset:1760
	s_add_u32 s0, s4, s6
	s_mul_hi_u32 s1, s6, 3
	s_mul_i32 s6, s6, 3
	s_addc_u32 s2, s5, 0
	s_add_u32 s0, s0, s6
	s_addc_u32 s1, s2, s1
	s_load_dword s0, s[0:1], 0x820
	s_mov_b32 s7, 0
	s_load_dword s24, s[4:5], 0xd38
	s_waitcnt vmcnt(0)
	v_readfirstlane_b32 s1, v1
	s_lshl_b32 s1, s1, 3
	s_load_dwordx2 s[10:11], s[4:5], 0xd30
	s_load_dwordx2 s[2:3], s[4:5], s1 offset:0x370
	s_load_dwordx2 s[14:15], s[4:5], s1 offset:0x0
	s_waitcnt lgkmcnt(0)
	s_ashr_i32 s1, s0, 31
	s_lshl_b64 s[16:17], s[0:1], 18
	s_lshl_b64 s[0:1], s[0:1], 16
	s_and_b32 s6, s14, 15
	s_sub_u32 s12, s2, s0
	s_subb_u32 s13, s3, s1
	s_and_b32 s0, s2, 3
	s_mov_b32 s1, s7
	s_or_b64 s[0:1], s[6:7], s[0:1]
	s_cmp_eq_u64 s[0:1], 0
	s_cbranch_scc1 .LBB6_21
; %bb.1:
	v_cmp_lt_i64_e64 s[0:1], s[12:13], 1
	s_and_b64 vcc, exec, s[0:1]
	s_cbranch_vccnz .LBB6_20
; %bb.2:
	s_load_dword s0, s[4:5], 0xd4c
	v_mov_b32_e32 v2, 0x10000
	v_mov_b32_e32 v3, 0
	v_cmp_lt_u64_e32 vcc, s[12:13], v[2:3]
	v_lshlrev_b32_e32 v4, 2, v0
	s_waitcnt lgkmcnt(0)
	s_and_b32 s3, s0, 0xffff
	s_and_b64 s[0:1], vcc, exec
	s_cselect_b32 s19, s13, 0
	s_cselect_b32 s18, s12, 0x10000
	s_lshl_b32 s6, s3, 1
	s_lshl_b32 s25, s3, 2
	s_add_u32 s7, s14, s16
	s_addc_u32 s8, s15, s17
	v_mov_b32_e32 v5, s8
	v_add_co_u32_e32 v4, vcc, s7, v4
	s_mul_i32 s0, s3, 3
	v_addc_co_u32_e32 v5, vcc, 0, v5, vcc
	v_add_co_u32_e32 v10, vcc, s0, v0
	v_addc_co_u32_e64 v11, s[0:1], 0, 0, vcc
	v_add_co_u32_e32 v12, vcc, s6, v0
	v_addc_co_u32_e64 v13, s[0:1], 0, 0, vcc
	v_add_co_u32_e32 v14, vcc, s3, v0
	v_lshlrev_b32_e32 v6, 2, v14
	s_mov_b32 s2, 0
	v_addc_co_u32_e64 v15, s[0:1], 0, 0, vcc
	v_mov_b32_e32 v7, s8
	v_add_co_u32_e32 v6, vcc, s7, v6
	v_mov_b32_e32 v1, 0
	s_lshl_b32 s26, s3, 4
	s_mul_i32 s27, s3, 12
	s_mov_b32 s28, s2
	s_lshl_b32 s29, s3, 3
	s_mov_b32 s30, s2
	v_addc_co_u32_e32 v7, vcc, 0, v7, vcc
	s_mov_b64 s[20:21], 0
	v_pk_mov_b32 v[8:9], s[12:13], s[12:13] op_sel:[0,1]
	v_mov_b32_e32 v16, s2
	s_branch .LBB6_4
.LBB6_3:                                ;   in Loop: Header=BB6_4 Depth=1
	s_or_b64 exec, exec, s[0:1]
	s_add_u32 s20, s20, s25
	s_addc_u32 s21, s21, 0
	v_cmp_lt_i64_e32 vcc, s[20:21], v[8:9]
	v_cmp_lt_u64_e64 s[0:1], s[20:21], v[2:3]
	s_and_b64 s[0:1], vcc, s[0:1]
	v_add_co_u32_e32 v4, vcc, s26, v4
	v_addc_co_u32_e32 v5, vcc, v5, v16, vcc
	v_add_co_u32_e32 v6, vcc, s26, v6
	v_addc_co_u32_e32 v7, vcc, v7, v16, vcc
	s_and_b64 vcc, exec, s[0:1]
	s_cbranch_vccz .LBB6_20
.LBB6_4:                                ; =>This Inner Loop Header: Depth=1
	v_mov_b32_e32 v17, s21
	v_add_co_u32_e32 v18, vcc, s20, v0
	v_addc_co_u32_e32 v19, vcc, 0, v17, vcc
	v_cmp_gt_u64_e32 vcc, s[18:19], v[18:19]
	v_mov_b32_e32 v17, 0
	s_and_saveexec_b64 s[0:1], vcc
	s_cbranch_execz .LBB6_6
; %bb.5:                                ;   in Loop: Header=BB6_4 Depth=1
	global_load_dword v17, v[4:5], off
.LBB6_6:                                ;   in Loop: Header=BB6_4 Depth=1
	s_or_b64 exec, exec, s[0:1]
	v_mov_b32_e32 v19, s21
	v_add_co_u32_e64 v18, s[0:1], s20, v14
	v_addc_co_u32_e64 v19, s[0:1], v15, v19, s[0:1]
	v_cmp_gt_u64_e64 s[0:1], s[18:19], v[18:19]
	v_mov_b32_e32 v18, 0
	v_mov_b32_e32 v19, 0
	s_and_saveexec_b64 s[2:3], s[0:1]
	s_cbranch_execz .LBB6_8
; %bb.7:                                ;   in Loop: Header=BB6_4 Depth=1
	global_load_dword v19, v[6:7], off
.LBB6_8:                                ;   in Loop: Header=BB6_4 Depth=1
	s_or_b64 exec, exec, s[2:3]
	v_mov_b32_e32 v21, s21
	v_add_co_u32_e64 v20, s[2:3], s20, v12
	v_addc_co_u32_e64 v21, s[2:3], v13, v21, s[2:3]
	v_cmp_gt_u64_e64 s[2:3], s[18:19], v[20:21]
	s_and_saveexec_b64 s[8:9], s[2:3]
	s_cbranch_execz .LBB6_10
; %bb.9:                                ;   in Loop: Header=BB6_4 Depth=1
	v_mov_b32_e32 v18, s30
	v_add_co_u32_e64 v20, s[6:7], s29, v4
	v_addc_co_u32_e64 v21, s[6:7], v5, v18, s[6:7]
	global_load_dword v18, v[20:21], off
.LBB6_10:                               ;   in Loop: Header=BB6_4 Depth=1
	s_or_b64 exec, exec, s[8:9]
	v_mov_b32_e32 v21, s21
	v_add_co_u32_e64 v20, s[6:7], s20, v10
	v_addc_co_u32_e64 v21, s[6:7], v11, v21, s[6:7]
	v_cmp_gt_u64_e64 s[6:7], s[18:19], v[20:21]
	v_mov_b32_e32 v20, 0
	s_and_saveexec_b64 s[22:23], s[6:7]
	s_cbranch_execz .LBB6_12
; %bb.11:                               ;   in Loop: Header=BB6_4 Depth=1
	v_mov_b32_e32 v21, s28
	v_add_co_u32_e64 v20, s[8:9], s27, v4
	v_addc_co_u32_e64 v21, s[8:9], v5, v21, s[8:9]
	global_load_dword v20, v[20:21], off
.LBB6_12:                               ;   in Loop: Header=BB6_4 Depth=1
	s_or_b64 exec, exec, s[22:23]
	global_load_dword v21, v1, s[10:11]
	s_waitcnt vmcnt(0)
	v_mul_f32_e32 v21, s24, v21
	s_and_saveexec_b64 s[8:9], vcc
	s_cbranch_execnz .LBB6_16
; %bb.13:                               ;   in Loop: Header=BB6_4 Depth=1
	s_or_b64 exec, exec, s[8:9]
	s_and_saveexec_b64 s[8:9], s[0:1]
	s_cbranch_execnz .LBB6_17
.LBB6_14:                               ;   in Loop: Header=BB6_4 Depth=1
	s_or_b64 exec, exec, s[8:9]
	s_and_saveexec_b64 s[0:1], s[2:3]
	s_cbranch_execnz .LBB6_18
.LBB6_15:                               ;   in Loop: Header=BB6_4 Depth=1
	s_or_b64 exec, exec, s[0:1]
	s_and_saveexec_b64 s[0:1], s[6:7]
	s_cbranch_execz .LBB6_3
	s_branch .LBB6_19
.LBB6_16:                               ;   in Loop: Header=BB6_4 Depth=1
	v_add_f32_e32 v17, v17, v21
	global_store_dword v[4:5], v17, off
	s_or_b64 exec, exec, s[8:9]
	s_and_saveexec_b64 s[8:9], s[0:1]
	s_cbranch_execz .LBB6_14
.LBB6_17:                               ;   in Loop: Header=BB6_4 Depth=1
	v_add_f32_e32 v17, v19, v21
	global_store_dword v[6:7], v17, off
	s_or_b64 exec, exec, s[8:9]
	s_and_saveexec_b64 s[0:1], s[2:3]
	s_cbranch_execz .LBB6_15
.LBB6_18:                               ;   in Loop: Header=BB6_4 Depth=1
	v_add_f32_e32 v17, v18, v21
	v_mov_b32_e32 v19, s30
	v_add_co_u32_e32 v18, vcc, s29, v4
	v_addc_co_u32_e32 v19, vcc, v5, v19, vcc
	global_store_dword v[18:19], v17, off
	s_or_b64 exec, exec, s[0:1]
	s_and_saveexec_b64 s[0:1], s[6:7]
	s_cbranch_execz .LBB6_3
.LBB6_19:                               ;   in Loop: Header=BB6_4 Depth=1
	v_mov_b32_e32 v19, s28
	v_add_co_u32_e32 v18, vcc, s27, v4
	v_add_f32_e32 v17, v20, v21
	v_addc_co_u32_e32 v19, vcc, v5, v19, vcc
	global_store_dword v[18:19], v17, off
	s_branch .LBB6_3
.LBB6_20:
	s_cbranch_execz .LBB6_22
	s_branch .LBB6_25
.LBB6_21:
.LBB6_22:
	v_mov_b32_e32 v3, 0
	v_lshlrev_b32_e32 v2, 2, v0
	s_mov_b32 s0, 0
	v_cmp_gt_i64_e32 vcc, s[12:13], v[2:3]
	s_and_saveexec_b64 s[2:3], vcc
	s_cbranch_execz .LBB6_25
; %bb.23:
	s_load_dword s1, s[4:5], 0xd4c
	v_lshlrev_b32_e32 v1, 4, v0
	s_mov_b64 s[4:5], 0xffff
	v_mov_b32_e32 v6, s0
	v_mov_b32_e32 v7, s0
	s_waitcnt lgkmcnt(0)
	s_and_b32 s1, s1, 0xffff
	s_add_u32 s2, s14, s16
	s_addc_u32 s3, s15, s17
	v_mov_b32_e32 v2, s3
	v_add_co_u32_e32 v1, vcc, s2, v1
	v_addc_co_u32_e32 v2, vcc, 0, v2, vcc
	v_add_co_u32_e32 v4, vcc, 8, v1
	v_addc_co_u32_e32 v5, vcc, 0, v2, vcc
	v_add_lshl_u32 v2, v0, s1, 2
	s_lshl_b32 s6, s1, 4
	s_lshl_b32 s7, s1, 2
	s_mov_b64 s[2:3], 0
	v_pk_mov_b32 v[0:1], v[2:3], v[2:3] op_sel:[0,1]
.LBB6_24:                               ; =>This Inner Loop Header: Depth=1
	global_load_dword v2, v3, s[10:11]
	global_load_dwordx4 v[8:11], v[4:5], off offset:-8
	v_cmp_le_i64_e32 vcc, s[12:13], v[0:1]
	v_cmp_lt_u64_e64 s[0:1], s[4:5], v[0:1]
	s_or_b64 s[0:1], vcc, s[0:1]
	s_and_b64 s[0:1], exec, s[0:1]
	s_or_b64 s[2:3], s[0:1], s[2:3]
	s_waitcnt vmcnt(1)
	v_mul_f32_e32 v2, s24, v2
	s_waitcnt vmcnt(0)
	v_pk_add_f32 v[8:9], v[8:9], v[2:3] op_sel_hi:[1,0]
	v_pk_add_f32 v[10:11], v[10:11], v[2:3] op_sel_hi:[1,0]
	global_store_dwordx4 v[4:5], v[8:11], off offset:-8
	v_add_co_u32_e32 v4, vcc, s6, v4
	v_addc_co_u32_e32 v5, vcc, v5, v6, vcc
	v_add_co_u32_e32 v0, vcc, s7, v0
	v_addc_co_u32_e32 v1, vcc, v1, v7, vcc
	s_andn2_b64 exec, exec, s[2:3]
	s_cbranch_execnz .LBB6_24
.LBB6_25:
	s_endpgm
	.section	.rodata,"a",@progbits
	.p2align	6, 0x0
	.amdhsa_kernel _ZN2at6native12_GLOBAL__N_125multi_tensor_apply_kernelINS1_18TensorListMetadataILi1EEENS1_27BinaryOpScalarTensorFunctorIfLi1ELi1ELi0EEEJSt4plusIfEPffEEEvT_T0_DpT1_
		.amdhsa_group_segment_fixed_size 0
		.amdhsa_private_segment_fixed_size 0
		.amdhsa_kernarg_size 3648
		.amdhsa_user_sgpr_count 6
		.amdhsa_user_sgpr_private_segment_buffer 1
		.amdhsa_user_sgpr_dispatch_ptr 0
		.amdhsa_user_sgpr_queue_ptr 0
		.amdhsa_user_sgpr_kernarg_segment_ptr 1
		.amdhsa_user_sgpr_dispatch_id 0
		.amdhsa_user_sgpr_flat_scratch_init 0
		.amdhsa_user_sgpr_kernarg_preload_length 0
		.amdhsa_user_sgpr_kernarg_preload_offset 0
		.amdhsa_user_sgpr_private_segment_size 0
		.amdhsa_uses_dynamic_stack 0
		.amdhsa_system_sgpr_private_segment_wavefront_offset 0
		.amdhsa_system_sgpr_workgroup_id_x 1
		.amdhsa_system_sgpr_workgroup_id_y 0
		.amdhsa_system_sgpr_workgroup_id_z 0
		.amdhsa_system_sgpr_workgroup_info 0
		.amdhsa_system_vgpr_workitem_id 0
		.amdhsa_next_free_vgpr 22
		.amdhsa_next_free_sgpr 31
		.amdhsa_accum_offset 24
		.amdhsa_reserve_vcc 1
		.amdhsa_reserve_flat_scratch 0
		.amdhsa_float_round_mode_32 0
		.amdhsa_float_round_mode_16_64 0
		.amdhsa_float_denorm_mode_32 3
		.amdhsa_float_denorm_mode_16_64 3
		.amdhsa_dx10_clamp 1
		.amdhsa_ieee_mode 1
		.amdhsa_fp16_overflow 0
		.amdhsa_tg_split 0
		.amdhsa_exception_fp_ieee_invalid_op 0
		.amdhsa_exception_fp_denorm_src 0
		.amdhsa_exception_fp_ieee_div_zero 0
		.amdhsa_exception_fp_ieee_overflow 0
		.amdhsa_exception_fp_ieee_underflow 0
		.amdhsa_exception_fp_ieee_inexact 0
		.amdhsa_exception_int_div_zero 0
	.end_amdhsa_kernel
	.section	.text._ZN2at6native12_GLOBAL__N_125multi_tensor_apply_kernelINS1_18TensorListMetadataILi1EEENS1_27BinaryOpScalarTensorFunctorIfLi1ELi1ELi0EEEJSt4plusIfEPffEEEvT_T0_DpT1_,"axG",@progbits,_ZN2at6native12_GLOBAL__N_125multi_tensor_apply_kernelINS1_18TensorListMetadataILi1EEENS1_27BinaryOpScalarTensorFunctorIfLi1ELi1ELi0EEEJSt4plusIfEPffEEEvT_T0_DpT1_,comdat
.Lfunc_end6:
	.size	_ZN2at6native12_GLOBAL__N_125multi_tensor_apply_kernelINS1_18TensorListMetadataILi1EEENS1_27BinaryOpScalarTensorFunctorIfLi1ELi1ELi0EEEJSt4plusIfEPffEEEvT_T0_DpT1_, .Lfunc_end6-_ZN2at6native12_GLOBAL__N_125multi_tensor_apply_kernelINS1_18TensorListMetadataILi1EEENS1_27BinaryOpScalarTensorFunctorIfLi1ELi1ELi0EEEJSt4plusIfEPffEEEvT_T0_DpT1_
                                        ; -- End function
	.section	.AMDGPU.csdata,"",@progbits
; Kernel info:
; codeLenInByte = 1040
; NumSgprs: 35
; NumVgprs: 22
; NumAgprs: 0
; TotalNumVgprs: 22
; ScratchSize: 0
; MemoryBound: 0
; FloatMode: 240
; IeeeMode: 1
; LDSByteSize: 0 bytes/workgroup (compile time only)
; SGPRBlocks: 4
; VGPRBlocks: 2
; NumSGPRsForWavesPerEU: 35
; NumVGPRsForWavesPerEU: 22
; AccumOffset: 24
; Occupancy: 8
; WaveLimiterHint : 0
; COMPUTE_PGM_RSRC2:SCRATCH_EN: 0
; COMPUTE_PGM_RSRC2:USER_SGPR: 6
; COMPUTE_PGM_RSRC2:TRAP_HANDLER: 0
; COMPUTE_PGM_RSRC2:TGID_X_EN: 1
; COMPUTE_PGM_RSRC2:TGID_Y_EN: 0
; COMPUTE_PGM_RSRC2:TGID_Z_EN: 0
; COMPUTE_PGM_RSRC2:TIDIG_COMP_CNT: 0
; COMPUTE_PGM_RSRC3_GFX90A:ACCUM_OFFSET: 5
; COMPUTE_PGM_RSRC3_GFX90A:TG_SPLIT: 0
	.section	.text._ZN2at6native12_GLOBAL__N_125multi_tensor_apply_kernelINS1_18TensorListMetadataILi1EEENS1_27BinaryOpScalarTensorFunctorIN3c107complexIdEELi1ELi1ELi0EEEJSt4plusIS8_EPS8_S8_EEEvT_T0_DpT1_,"axG",@progbits,_ZN2at6native12_GLOBAL__N_125multi_tensor_apply_kernelINS1_18TensorListMetadataILi1EEENS1_27BinaryOpScalarTensorFunctorIN3c107complexIdEELi1ELi1ELi0EEEJSt4plusIS8_EPS8_S8_EEEvT_T0_DpT1_,comdat
	.globl	_ZN2at6native12_GLOBAL__N_125multi_tensor_apply_kernelINS1_18TensorListMetadataILi1EEENS1_27BinaryOpScalarTensorFunctorIN3c107complexIdEELi1ELi1ELi0EEEJSt4plusIS8_EPS8_S8_EEEvT_T0_DpT1_ ; -- Begin function _ZN2at6native12_GLOBAL__N_125multi_tensor_apply_kernelINS1_18TensorListMetadataILi1EEENS1_27BinaryOpScalarTensorFunctorIN3c107complexIdEELi1ELi1ELi0EEEJSt4plusIS8_EPS8_S8_EEEvT_T0_DpT1_
	.p2align	8
	.type	_ZN2at6native12_GLOBAL__N_125multi_tensor_apply_kernelINS1_18TensorListMetadataILi1EEENS1_27BinaryOpScalarTensorFunctorIN3c107complexIdEELi1ELi1ELi0EEEJSt4plusIS8_EPS8_S8_EEEvT_T0_DpT1_,@function
_ZN2at6native12_GLOBAL__N_125multi_tensor_apply_kernelINS1_18TensorListMetadataILi1EEENS1_27BinaryOpScalarTensorFunctorIN3c107complexIdEELi1ELi1ELi0EEEJSt4plusIS8_EPS8_S8_EEEvT_T0_DpT1_: ; @_ZN2at6native12_GLOBAL__N_125multi_tensor_apply_kernelINS1_18TensorListMetadataILi1EEENS1_27BinaryOpScalarTensorFunctorIN3c107complexIdEELi1ELi1ELi0EEEJSt4plusIS8_EPS8_S8_EEEvT_T0_DpT1_
; %bb.0:
	v_mov_b32_e32 v1, s6
	global_load_ubyte v1, v1, s[4:5] offset:1760
	s_add_u32 s0, s4, s6
	s_mul_hi_u32 s1, s6, 3
	s_mul_i32 s6, s6, 3
	s_addc_u32 s2, s5, 0
	s_add_u32 s0, s0, s6
	s_addc_u32 s1, s2, s1
	s_load_dword s0, s[0:1], 0x820
	s_mov_b32 s7, 0
	s_load_dwordx4 s[12:15], s[4:5], 0xd40
	s_waitcnt vmcnt(0)
	v_readfirstlane_b32 s1, v1
	s_lshl_b32 s1, s1, 3
	s_load_dwordx2 s[18:19], s[4:5], s1 offset:0x0
	s_load_dwordx2 s[10:11], s[4:5], 0xd30
	s_load_dwordx2 s[2:3], s[4:5], s1 offset:0x370
	s_waitcnt lgkmcnt(0)
	s_ashr_i32 s1, s0, 31
	s_lshl_b64 s[20:21], s[0:1], 20
	s_add_u32 s28, s18, s20
	s_addc_u32 s29, s19, s21
	s_lshl_b64 s[0:1], s[0:1], 16
	s_and_b32 s6, s28, 63
	s_sub_u32 s16, s2, s0
	s_subb_u32 s17, s3, s1
	s_and_b32 s0, s2, 3
	s_mov_b32 s1, s7
	s_or_b64 s[0:1], s[6:7], s[0:1]
	s_cmp_eq_u64 s[0:1], 0
	s_cbranch_scc1 .LBB7_21
; %bb.1:
	v_cmp_lt_i64_e64 s[0:1], s[16:17], 1
	s_and_b64 vcc, exec, s[0:1]
	s_cbranch_vccnz .LBB7_20
; %bb.2:
	s_load_dword s0, s[4:5], 0xd5c
	v_mov_b32_e32 v2, 0x10000
	v_mov_b32_e32 v3, 0
	v_cmp_lt_u64_e32 vcc, s[16:17], v[2:3]
	v_mov_b32_e32 v19, 0
	s_waitcnt lgkmcnt(0)
	s_and_b32 s2, s0, 0xffff
	s_and_b64 s[0:1], vcc, exec
	s_mul_i32 s6, s2, 3
	v_add_co_u32_e32 v23, vcc, s2, v0
	v_lshlrev_b32_e32 v18, 4, v0
	v_addc_co_u32_e64 v25, s[0:1], 0, 0, vcc
	v_add_co_u32_e32 v30, vcc, s6, v0
	v_mad_u64_u32 v[20:21], s[0:1], s2, 48, v[18:19]
	v_addc_co_u32_e64 v31, s[0:1], 0, 0, vcc
	s_cselect_b32 s23, s17, 0
	s_cselect_b32 s22, s16, 0x10000
	s_lshl_b32 s0, s2, 5
	s_lshl_b32 s3, s2, 1
	v_add_co_u32_e32 v2, vcc, s0, v18
	v_addc_co_u32_e64 v1, s[0:1], 0, 0, vcc
	v_add_co_u32_e32 v32, vcc, s3, v0
	s_lshl_b32 s30, s2, 2
	s_lshl_b32 s31, s2, 6
	v_or_b32_e32 v20, 8, v20
	v_lshlrev_b32_e32 v22, 4, v23
	v_or_b32_e32 v24, 8, v2
	v_addc_co_u32_e64 v33, s[0:1], 0, 0, vcc
	s_mov_b64 s[24:25], 0
	s_branch .LBB7_4
.LBB7_3:                                ;   in Loop: Header=BB7_4 Depth=1
	s_or_b64 exec, exec, s[0:1]
	s_add_u32 s24, s24, s30
	s_addc_u32 s25, s25, 0
	v_pk_mov_b32 v[2:3], s[16:17], s[16:17] op_sel:[0,1]
	v_cmp_lt_i64_e32 vcc, s[24:25], v[2:3]
	v_mov_b32_e32 v2, 0x10000
	v_mov_b32_e32 v3, 0
	v_cmp_lt_u64_e64 s[0:1], s[24:25], v[2:3]
	s_and_b64 s[0:1], vcc, s[0:1]
	s_add_u32 s28, s28, s31
	s_addc_u32 s29, s29, 0
	s_and_b64 vcc, exec, s[0:1]
	s_cbranch_vccz .LBB7_20
.LBB7_4:                                ; =>This Inner Loop Header: Depth=1
	v_mov_b32_e32 v3, s25
	v_add_co_u32_e32 v2, vcc, s24, v0
	v_addc_co_u32_e32 v3, vcc, 0, v3, vcc
	v_pk_mov_b32 v[4:5], 0, 0
	v_cmp_gt_u64_e32 vcc, s[22:23], v[2:3]
	v_pk_mov_b32 v[8:9], v[4:5], v[4:5] op_sel:[0,1]
	v_pk_mov_b32 v[6:7], v[4:5], v[4:5] op_sel:[0,1]
	s_and_saveexec_b64 s[2:3], vcc
	s_cbranch_execz .LBB7_6
; %bb.5:                                ;   in Loop: Header=BB7_4 Depth=1
	v_mov_b32_e32 v3, s29
	v_add_co_u32_e64 v2, s[0:1], s28, v18
	v_addc_co_u32_e64 v3, s[0:1], 0, v3, s[0:1]
	global_load_dwordx4 v[6:9], v[2:3], off
.LBB7_6:                                ;   in Loop: Header=BB7_4 Depth=1
	s_or_b64 exec, exec, s[2:3]
	v_mov_b32_e32 v3, s25
	v_add_co_u32_e64 v2, s[0:1], s24, v23
	v_addc_co_u32_e64 v3, s[0:1], v25, v3, s[0:1]
	v_cmp_gt_u64_e64 s[0:1], s[22:23], v[2:3]
	v_pk_mov_b32 v[2:3], v[4:5], v[4:5] op_sel:[0,1]
	s_and_saveexec_b64 s[6:7], s[0:1]
	s_cbranch_execz .LBB7_8
; %bb.7:                                ;   in Loop: Header=BB7_4 Depth=1
	v_mov_b32_e32 v3, s29
	v_add_co_u32_e64 v2, s[2:3], s28, v22
	v_addc_co_u32_e64 v3, s[2:3], 0, v3, s[2:3]
	global_load_dwordx4 v[2:5], v[2:3], off
.LBB7_8:                                ;   in Loop: Header=BB7_4 Depth=1
	s_or_b64 exec, exec, s[6:7]
	v_mov_b32_e32 v11, s25
	v_add_co_u32_e64 v10, s[2:3], s24, v32
	v_addc_co_u32_e64 v11, s[2:3], v33, v11, s[2:3]
	v_pk_mov_b32 v[12:13], 0, 0
	v_cmp_gt_u64_e64 s[2:3], s[22:23], v[10:11]
	v_pk_mov_b32 v[16:17], v[12:13], v[12:13] op_sel:[0,1]
	v_pk_mov_b32 v[14:15], v[12:13], v[12:13] op_sel:[0,1]
	s_and_saveexec_b64 s[8:9], s[2:3]
	s_cbranch_execz .LBB7_10
; %bb.9:                                ;   in Loop: Header=BB7_4 Depth=1
	v_mov_b32_e32 v11, s29
	v_add_co_u32_e64 v10, s[6:7], s28, v24
	v_addc_co_u32_e64 v11, s[6:7], v11, v1, s[6:7]
	global_load_dwordx4 v[14:17], v[10:11], off offset:-8
.LBB7_10:                               ;   in Loop: Header=BB7_4 Depth=1
	s_or_b64 exec, exec, s[8:9]
	v_mov_b32_e32 v11, s25
	v_add_co_u32_e64 v10, s[6:7], s24, v30
	v_addc_co_u32_e64 v11, s[6:7], v31, v11, s[6:7]
	v_cmp_gt_u64_e64 s[6:7], s[22:23], v[10:11]
	v_pk_mov_b32 v[10:11], v[12:13], v[12:13] op_sel:[0,1]
	s_and_saveexec_b64 s[26:27], s[6:7]
	s_cbranch_execz .LBB7_12
; %bb.11:                               ;   in Loop: Header=BB7_4 Depth=1
	v_mov_b32_e32 v11, s29
	v_add_co_u32_e64 v10, s[8:9], s28, v20
	v_addc_co_u32_e64 v11, s[8:9], v11, v21, s[8:9]
	global_load_dwordx4 v[10:13], v[10:11], off offset:-8
.LBB7_12:                               ;   in Loop: Header=BB7_4 Depth=1
	s_or_b64 exec, exec, s[26:27]
	global_load_dwordx4 v[34:37], v19, s[10:11]
	s_waitcnt vmcnt(0)
	v_mul_f64 v[28:29], s[14:15], v[36:37]
	v_mul_f64 v[26:27], s[12:13], v[36:37]
	v_fma_f64 v[28:29], s[12:13], v[34:35], -v[28:29]
	v_fmac_f64_e32 v[26:27], s[14:15], v[34:35]
	s_and_saveexec_b64 s[8:9], vcc
	s_cbranch_execnz .LBB7_16
; %bb.13:                               ;   in Loop: Header=BB7_4 Depth=1
	s_or_b64 exec, exec, s[8:9]
	s_and_saveexec_b64 s[8:9], s[0:1]
	s_cbranch_execnz .LBB7_17
.LBB7_14:                               ;   in Loop: Header=BB7_4 Depth=1
	s_or_b64 exec, exec, s[8:9]
	s_and_saveexec_b64 s[0:1], s[2:3]
	s_cbranch_execnz .LBB7_18
.LBB7_15:                               ;   in Loop: Header=BB7_4 Depth=1
	s_or_b64 exec, exec, s[0:1]
	s_and_saveexec_b64 s[0:1], s[6:7]
	s_cbranch_execz .LBB7_3
	s_branch .LBB7_19
.LBB7_16:                               ;   in Loop: Header=BB7_4 Depth=1
	v_mov_b32_e32 v35, s29
	v_add_co_u32_e32 v34, vcc, s28, v18
	v_addc_co_u32_e32 v35, vcc, 0, v35, vcc
	v_add_f64 v[6:7], v[6:7], v[28:29]
	v_add_f64 v[8:9], v[8:9], v[26:27]
	global_store_dwordx4 v[34:35], v[6:9], off
	s_or_b64 exec, exec, s[8:9]
	s_and_saveexec_b64 s[8:9], s[0:1]
	s_cbranch_execz .LBB7_14
.LBB7_17:                               ;   in Loop: Header=BB7_4 Depth=1
	v_mov_b32_e32 v7, s29
	v_add_co_u32_e32 v6, vcc, s28, v22
	v_add_f64 v[2:3], v[2:3], v[28:29]
	v_add_f64 v[4:5], v[4:5], v[26:27]
	v_addc_co_u32_e32 v7, vcc, 0, v7, vcc
	global_store_dwordx4 v[6:7], v[2:5], off
	s_or_b64 exec, exec, s[8:9]
	s_and_saveexec_b64 s[0:1], s[2:3]
	s_cbranch_execz .LBB7_15
.LBB7_18:                               ;   in Loop: Header=BB7_4 Depth=1
	v_mov_b32_e32 v7, s29
	v_add_co_u32_e32 v6, vcc, s28, v24
	v_add_f64 v[2:3], v[14:15], v[28:29]
	v_add_f64 v[4:5], v[16:17], v[26:27]
	v_addc_co_u32_e32 v7, vcc, v7, v1, vcc
	global_store_dwordx4 v[6:7], v[2:5], off offset:-8
	s_or_b64 exec, exec, s[0:1]
	s_and_saveexec_b64 s[0:1], s[6:7]
	s_cbranch_execz .LBB7_3
.LBB7_19:                               ;   in Loop: Header=BB7_4 Depth=1
	v_mov_b32_e32 v7, s29
	v_add_co_u32_e32 v6, vcc, s28, v20
	v_add_f64 v[2:3], v[10:11], v[28:29]
	v_add_f64 v[4:5], v[12:13], v[26:27]
	v_addc_co_u32_e32 v7, vcc, v7, v21, vcc
	global_store_dwordx4 v[6:7], v[2:5], off offset:-8
	s_branch .LBB7_3
.LBB7_20:
	s_cbranch_execz .LBB7_22
	s_branch .LBB7_25
.LBB7_21:
.LBB7_22:
	v_mov_b32_e32 v3, 0
	v_lshlrev_b32_e32 v2, 2, v0
	s_mov_b32 s0, 0
	v_cmp_gt_i64_e32 vcc, s[16:17], v[2:3]
	s_and_saveexec_b64 s[2:3], vcc
	s_cbranch_execz .LBB7_25
; %bb.23:
	s_load_dword s1, s[4:5], 0xd5c
	v_lshlrev_b32_e32 v1, 6, v0
	s_mov_b64 s[4:5], 0
	s_mov_b64 s[6:7], 0xffff
	v_mov_b32_e32 v6, s0
	s_waitcnt lgkmcnt(0)
	s_and_b32 s1, s1, 0xffff
	s_lshl_b32 s8, s1, 2
	s_add_u32 s2, s18, s20
	s_addc_u32 s3, s19, s21
	v_add_lshl_u32 v2, v0, s1, 2
	v_mov_b32_e32 v4, s3
	v_add_co_u32_e32 v0, vcc, s2, v1
	v_addc_co_u32_e32 v1, vcc, 0, v4, vcc
	s_lshl_b32 s9, s1, 6
	v_mov_b32_e32 v7, s0
	v_pk_mov_b32 v[4:5], v[2:3], v[2:3] op_sel:[0,1]
.LBB7_24:                               ; =>This Inner Loop Header: Depth=1
	global_load_dwordx4 v[8:11], v3, s[10:11]
	global_load_dwordx4 v[12:15], v[0:1], off
	global_load_dwordx4 v[16:19], v[0:1], off offset:16
	global_load_dwordx4 v[20:23], v[0:1], off offset:32
	;; [unrolled: 1-line block ×3, first 2 shown]
	v_cmp_le_i64_e32 vcc, s[16:17], v[4:5]
	v_cmp_lt_u64_e64 s[0:1], s[6:7], v[4:5]
	s_or_b64 s[0:1], vcc, s[0:1]
	v_add_co_u32_e64 v4, s[2:3], s8, v4
	s_and_b64 s[0:1], exec, s[0:1]
	v_addc_co_u32_e64 v5, s[2:3], v5, v6, s[2:3]
	s_or_b64 s[4:5], s[0:1], s[4:5]
	s_waitcnt vmcnt(4)
	v_mul_f64 v[28:29], s[14:15], v[10:11]
	v_mul_f64 v[30:31], s[12:13], v[10:11]
	v_fma_f64 v[28:29], s[12:13], v[8:9], -v[28:29]
	v_fmac_f64_e32 v[30:31], s[14:15], v[8:9]
	s_waitcnt vmcnt(3)
	v_add_f64 v[8:9], v[12:13], v[28:29]
	v_add_f64 v[10:11], v[14:15], v[30:31]
	s_waitcnt vmcnt(2)
	v_add_f64 v[12:13], v[16:17], v[28:29]
	v_add_f64 v[14:15], v[18:19], v[30:31]
	;; [unrolled: 3-line block ×4, first 2 shown]
	global_store_dwordx4 v[0:1], v[8:11], off
	global_store_dwordx4 v[0:1], v[12:15], off offset:16
	global_store_dwordx4 v[0:1], v[16:19], off offset:32
	;; [unrolled: 1-line block ×3, first 2 shown]
	v_add_co_u32_e32 v0, vcc, s9, v0
	v_addc_co_u32_e32 v1, vcc, v1, v7, vcc
	s_andn2_b64 exec, exec, s[4:5]
	s_cbranch_execnz .LBB7_24
.LBB7_25:
	s_endpgm
	.section	.rodata,"a",@progbits
	.p2align	6, 0x0
	.amdhsa_kernel _ZN2at6native12_GLOBAL__N_125multi_tensor_apply_kernelINS1_18TensorListMetadataILi1EEENS1_27BinaryOpScalarTensorFunctorIN3c107complexIdEELi1ELi1ELi0EEEJSt4plusIS8_EPS8_S8_EEEvT_T0_DpT1_
		.amdhsa_group_segment_fixed_size 0
		.amdhsa_private_segment_fixed_size 0
		.amdhsa_kernarg_size 3664
		.amdhsa_user_sgpr_count 6
		.amdhsa_user_sgpr_private_segment_buffer 1
		.amdhsa_user_sgpr_dispatch_ptr 0
		.amdhsa_user_sgpr_queue_ptr 0
		.amdhsa_user_sgpr_kernarg_segment_ptr 1
		.amdhsa_user_sgpr_dispatch_id 0
		.amdhsa_user_sgpr_flat_scratch_init 0
		.amdhsa_user_sgpr_kernarg_preload_length 0
		.amdhsa_user_sgpr_kernarg_preload_offset 0
		.amdhsa_user_sgpr_private_segment_size 0
		.amdhsa_uses_dynamic_stack 0
		.amdhsa_system_sgpr_private_segment_wavefront_offset 0
		.amdhsa_system_sgpr_workgroup_id_x 1
		.amdhsa_system_sgpr_workgroup_id_y 0
		.amdhsa_system_sgpr_workgroup_id_z 0
		.amdhsa_system_sgpr_workgroup_info 0
		.amdhsa_system_vgpr_workitem_id 0
		.amdhsa_next_free_vgpr 38
		.amdhsa_next_free_sgpr 32
		.amdhsa_accum_offset 40
		.amdhsa_reserve_vcc 1
		.amdhsa_reserve_flat_scratch 0
		.amdhsa_float_round_mode_32 0
		.amdhsa_float_round_mode_16_64 0
		.amdhsa_float_denorm_mode_32 3
		.amdhsa_float_denorm_mode_16_64 3
		.amdhsa_dx10_clamp 1
		.amdhsa_ieee_mode 1
		.amdhsa_fp16_overflow 0
		.amdhsa_tg_split 0
		.amdhsa_exception_fp_ieee_invalid_op 0
		.amdhsa_exception_fp_denorm_src 0
		.amdhsa_exception_fp_ieee_div_zero 0
		.amdhsa_exception_fp_ieee_overflow 0
		.amdhsa_exception_fp_ieee_underflow 0
		.amdhsa_exception_fp_ieee_inexact 0
		.amdhsa_exception_int_div_zero 0
	.end_amdhsa_kernel
	.section	.text._ZN2at6native12_GLOBAL__N_125multi_tensor_apply_kernelINS1_18TensorListMetadataILi1EEENS1_27BinaryOpScalarTensorFunctorIN3c107complexIdEELi1ELi1ELi0EEEJSt4plusIS8_EPS8_S8_EEEvT_T0_DpT1_,"axG",@progbits,_ZN2at6native12_GLOBAL__N_125multi_tensor_apply_kernelINS1_18TensorListMetadataILi1EEENS1_27BinaryOpScalarTensorFunctorIN3c107complexIdEELi1ELi1ELi0EEEJSt4plusIS8_EPS8_S8_EEEvT_T0_DpT1_,comdat
.Lfunc_end7:
	.size	_ZN2at6native12_GLOBAL__N_125multi_tensor_apply_kernelINS1_18TensorListMetadataILi1EEENS1_27BinaryOpScalarTensorFunctorIN3c107complexIdEELi1ELi1ELi0EEEJSt4plusIS8_EPS8_S8_EEEvT_T0_DpT1_, .Lfunc_end7-_ZN2at6native12_GLOBAL__N_125multi_tensor_apply_kernelINS1_18TensorListMetadataILi1EEENS1_27BinaryOpScalarTensorFunctorIN3c107complexIdEELi1ELi1ELi0EEEJSt4plusIS8_EPS8_S8_EEEvT_T0_DpT1_
                                        ; -- End function
	.section	.AMDGPU.csdata,"",@progbits
; Kernel info:
; codeLenInByte = 1344
; NumSgprs: 36
; NumVgprs: 38
; NumAgprs: 0
; TotalNumVgprs: 38
; ScratchSize: 0
; MemoryBound: 1
; FloatMode: 240
; IeeeMode: 1
; LDSByteSize: 0 bytes/workgroup (compile time only)
; SGPRBlocks: 4
; VGPRBlocks: 4
; NumSGPRsForWavesPerEU: 36
; NumVGPRsForWavesPerEU: 38
; AccumOffset: 40
; Occupancy: 8
; WaveLimiterHint : 0
; COMPUTE_PGM_RSRC2:SCRATCH_EN: 0
; COMPUTE_PGM_RSRC2:USER_SGPR: 6
; COMPUTE_PGM_RSRC2:TRAP_HANDLER: 0
; COMPUTE_PGM_RSRC2:TGID_X_EN: 1
; COMPUTE_PGM_RSRC2:TGID_Y_EN: 0
; COMPUTE_PGM_RSRC2:TGID_Z_EN: 0
; COMPUTE_PGM_RSRC2:TIDIG_COMP_CNT: 0
; COMPUTE_PGM_RSRC3_GFX90A:ACCUM_OFFSET: 9
; COMPUTE_PGM_RSRC3_GFX90A:TG_SPLIT: 0
	.section	.text._ZN2at6native12_GLOBAL__N_125multi_tensor_apply_kernelINS1_18TensorListMetadataILi1EEENS1_27BinaryOpScalarTensorFunctorIN3c107complexIfEELi1ELi1ELi0EEEJSt4plusIS8_EPS8_S8_EEEvT_T0_DpT1_,"axG",@progbits,_ZN2at6native12_GLOBAL__N_125multi_tensor_apply_kernelINS1_18TensorListMetadataILi1EEENS1_27BinaryOpScalarTensorFunctorIN3c107complexIfEELi1ELi1ELi0EEEJSt4plusIS8_EPS8_S8_EEEvT_T0_DpT1_,comdat
	.globl	_ZN2at6native12_GLOBAL__N_125multi_tensor_apply_kernelINS1_18TensorListMetadataILi1EEENS1_27BinaryOpScalarTensorFunctorIN3c107complexIfEELi1ELi1ELi0EEEJSt4plusIS8_EPS8_S8_EEEvT_T0_DpT1_ ; -- Begin function _ZN2at6native12_GLOBAL__N_125multi_tensor_apply_kernelINS1_18TensorListMetadataILi1EEENS1_27BinaryOpScalarTensorFunctorIN3c107complexIfEELi1ELi1ELi0EEEJSt4plusIS8_EPS8_S8_EEEvT_T0_DpT1_
	.p2align	8
	.type	_ZN2at6native12_GLOBAL__N_125multi_tensor_apply_kernelINS1_18TensorListMetadataILi1EEENS1_27BinaryOpScalarTensorFunctorIN3c107complexIfEELi1ELi1ELi0EEEJSt4plusIS8_EPS8_S8_EEEvT_T0_DpT1_,@function
_ZN2at6native12_GLOBAL__N_125multi_tensor_apply_kernelINS1_18TensorListMetadataILi1EEENS1_27BinaryOpScalarTensorFunctorIN3c107complexIfEELi1ELi1ELi0EEEJSt4plusIS8_EPS8_S8_EEEvT_T0_DpT1_: ; @_ZN2at6native12_GLOBAL__N_125multi_tensor_apply_kernelINS1_18TensorListMetadataILi1EEENS1_27BinaryOpScalarTensorFunctorIN3c107complexIfEELi1ELi1ELi0EEEJSt4plusIS8_EPS8_S8_EEEvT_T0_DpT1_
; %bb.0:
	v_mov_b32_e32 v1, s6
	global_load_ubyte v1, v1, s[4:5] offset:1760
	s_add_u32 s0, s4, s6
	s_mul_hi_u32 s1, s6, 3
	s_mul_i32 s6, s6, 3
	s_addc_u32 s2, s5, 0
	s_add_u32 s0, s0, s6
	s_addc_u32 s1, s2, s1
	s_load_dword s0, s[0:1], 0x820
	s_mov_b32 s7, 0
	s_load_dwordx4 s[12:15], s[4:5], 0xd30
	s_waitcnt vmcnt(0)
	v_readfirstlane_b32 s1, v1
	s_lshl_b32 s1, s1, 3
	s_load_dwordx2 s[2:3], s[4:5], s1 offset:0x370
	s_load_dwordx2 s[16:17], s[4:5], s1 offset:0x0
	s_waitcnt lgkmcnt(0)
	s_ashr_i32 s1, s0, 31
	s_lshl_b64 s[18:19], s[0:1], 19
	s_lshl_b64 s[0:1], s[0:1], 16
	s_and_b32 s6, s16, 31
	s_sub_u32 s10, s2, s0
	s_subb_u32 s11, s3, s1
	s_and_b32 s0, s2, 3
	s_mov_b32 s1, s7
	s_or_b64 s[0:1], s[6:7], s[0:1]
	s_cmp_eq_u64 s[0:1], 0
	s_cbranch_scc1 .LBB8_21
; %bb.1:
	v_cmp_lt_i64_e64 s[0:1], s[10:11], 1
	s_and_b64 vcc, exec, s[0:1]
	s_cbranch_vccnz .LBB8_20
; %bb.2:
	s_load_dword s0, s[4:5], 0xd4c
	v_mov_b32_e32 v2, 0x10000
	v_mov_b32_e32 v3, 0
	v_cmp_lt_u64_e32 vcc, s[10:11], v[2:3]
	v_lshlrev_b32_e32 v2, 3, v0
	s_waitcnt lgkmcnt(0)
	s_and_b32 s3, s0, 0xffff
	s_and_b64 s[0:1], vcc, exec
	s_cselect_b32 s21, s11, 0
	s_cselect_b32 s20, s10, 0x10000
	s_lshl_b32 s6, s3, 1
	s_lshl_b32 s30, s3, 2
	s_add_u32 s7, s16, s18
	s_addc_u32 s8, s17, s19
	v_mov_b32_e32 v3, s8
	v_add_co_u32_e32 v2, vcc, s7, v2
	s_mul_i32 s0, s3, 3
	v_addc_co_u32_e32 v3, vcc, 0, v3, vcc
	v_add_co_u32_e32 v18, vcc, s0, v0
	v_addc_co_u32_e64 v19, s[0:1], 0, 0, vcc
	v_add_co_u32_e32 v20, vcc, s6, v0
	v_addc_co_u32_e64 v21, s[0:1], 0, 0, vcc
	v_add_co_u32_e32 v22, vcc, s3, v0
	v_lshlrev_b32_e32 v4, 3, v22
	s_mov_b32 s2, 0
	v_addc_co_u32_e64 v23, s[0:1], 0, 0, vcc
	v_mov_b32_e32 v5, s8
	v_add_co_u32_e32 v4, vcc, s7, v4
	v_mov_b32_e32 v1, 0
	s_mov_b32 s22, s14
	s_mov_b32 s23, s14
	;; [unrolled: 1-line block ×4, first 2 shown]
	s_lshl_b32 s31, s3, 5
	s_mul_i32 s33, s3, 24
	s_mov_b32 s34, s2
	s_lshl_b32 s35, s3, 4
	s_mov_b32 s36, s2
	v_addc_co_u32_e32 v5, vcc, 0, v5, vcc
	s_mov_b64 s[26:27], 0
	v_pk_mov_b32 v[6:7], s[10:11], s[10:11] op_sel:[0,1]
	v_mov_b32_e32 v24, s2
	s_branch .LBB8_4
.LBB8_3:                                ;   in Loop: Header=BB8_4 Depth=1
	s_or_b64 exec, exec, s[0:1]
	s_add_u32 s26, s26, s30
	v_mov_b32_e32 v8, 0x10000
	s_addc_u32 s27, s27, 0
	v_mov_b32_e32 v9, 0
	v_cmp_lt_i64_e32 vcc, s[26:27], v[6:7]
	v_cmp_lt_u64_e64 s[0:1], s[26:27], v[8:9]
	s_and_b64 s[0:1], vcc, s[0:1]
	v_add_co_u32_e32 v2, vcc, s31, v2
	v_addc_co_u32_e32 v3, vcc, v3, v24, vcc
	v_add_co_u32_e32 v4, vcc, s31, v4
	v_addc_co_u32_e32 v5, vcc, v5, v24, vcc
	s_and_b64 vcc, exec, s[0:1]
	s_cbranch_vccz .LBB8_20
.LBB8_4:                                ; =>This Inner Loop Header: Depth=1
	v_mov_b32_e32 v9, s27
	v_add_co_u32_e32 v8, vcc, s26, v0
	v_addc_co_u32_e32 v9, vcc, 0, v9, vcc
	v_cmp_gt_u64_e32 vcc, s[20:21], v[8:9]
	v_mov_b32_e32 v8, 0
	v_mov_b32_e32 v9, 0
	s_and_saveexec_b64 s[0:1], vcc
	s_cbranch_execz .LBB8_6
; %bb.5:                                ;   in Loop: Header=BB8_4 Depth=1
	global_load_dwordx2 v[8:9], v[2:3], off
.LBB8_6:                                ;   in Loop: Header=BB8_4 Depth=1
	s_or_b64 exec, exec, s[0:1]
	v_mov_b32_e32 v11, s27
	v_add_co_u32_e64 v10, s[0:1], s26, v22
	v_addc_co_u32_e64 v11, s[0:1], v23, v11, s[0:1]
	v_cmp_gt_u64_e64 s[0:1], s[20:21], v[10:11]
	v_mov_b32_e32 v10, 0
	v_mov_b32_e32 v12, 0
	;; [unrolled: 1-line block ×3, first 2 shown]
	s_and_saveexec_b64 s[2:3], s[0:1]
	s_cbranch_execz .LBB8_8
; %bb.7:                                ;   in Loop: Header=BB8_4 Depth=1
	global_load_dwordx2 v[12:13], v[4:5], off
.LBB8_8:                                ;   in Loop: Header=BB8_4 Depth=1
	s_or_b64 exec, exec, s[2:3]
	v_mov_b32_e32 v11, s27
	v_add_co_u32_e64 v14, s[2:3], s26, v20
	v_addc_co_u32_e64 v15, s[2:3], v21, v11, s[2:3]
	v_cmp_gt_u64_e64 s[2:3], s[20:21], v[14:15]
	v_mov_b32_e32 v11, 0
	s_and_saveexec_b64 s[8:9], s[2:3]
	s_cbranch_execz .LBB8_10
; %bb.9:                                ;   in Loop: Header=BB8_4 Depth=1
	v_mov_b32_e32 v11, s36
	v_add_co_u32_e64 v10, s[6:7], s35, v2
	v_addc_co_u32_e64 v11, s[6:7], v3, v11, s[6:7]
	global_load_dwordx2 v[10:11], v[10:11], off
.LBB8_10:                               ;   in Loop: Header=BB8_4 Depth=1
	s_or_b64 exec, exec, s[8:9]
	v_mov_b32_e32 v15, s27
	v_add_co_u32_e64 v14, s[6:7], s26, v18
	v_addc_co_u32_e64 v15, s[6:7], v19, v15, s[6:7]
	v_cmp_gt_u64_e64 s[6:7], s[20:21], v[14:15]
	v_mov_b32_e32 v14, 0
	v_mov_b32_e32 v15, 0
	s_and_saveexec_b64 s[28:29], s[6:7]
	s_cbranch_execz .LBB8_12
; %bb.11:                               ;   in Loop: Header=BB8_4 Depth=1
	v_mov_b32_e32 v15, s34
	v_add_co_u32_e64 v14, s[8:9], s33, v2
	v_addc_co_u32_e64 v15, s[8:9], v3, v15, s[8:9]
	global_load_dwordx2 v[14:15], v[14:15], off
.LBB8_12:                               ;   in Loop: Header=BB8_4 Depth=1
	s_or_b64 exec, exec, s[28:29]
	global_load_dwordx2 v[26:27], v1, s[12:13]
	s_waitcnt vmcnt(0)
	v_pk_mul_f32 v[28:29], v[26:27], s[24:25]
	v_pk_fma_f32 v[16:17], v[26:27], s[22:23], v[28:29] op_sel:[0,0,1] op_sel_hi:[1,1,0] neg_lo:[0,0,1] neg_hi:[0,0,1]
	v_pk_fma_f32 v[26:27], v[26:27], s[22:23], v[28:29] op_sel:[0,0,1] op_sel_hi:[1,1,0]
	v_mov_b32_e32 v17, v27
	s_and_saveexec_b64 s[8:9], vcc
	s_cbranch_execnz .LBB8_16
; %bb.13:                               ;   in Loop: Header=BB8_4 Depth=1
	s_or_b64 exec, exec, s[8:9]
	s_and_saveexec_b64 s[8:9], s[0:1]
	s_cbranch_execnz .LBB8_17
.LBB8_14:                               ;   in Loop: Header=BB8_4 Depth=1
	s_or_b64 exec, exec, s[8:9]
	s_and_saveexec_b64 s[0:1], s[2:3]
	s_cbranch_execnz .LBB8_18
.LBB8_15:                               ;   in Loop: Header=BB8_4 Depth=1
	s_or_b64 exec, exec, s[0:1]
	s_and_saveexec_b64 s[0:1], s[6:7]
	s_cbranch_execz .LBB8_3
	s_branch .LBB8_19
.LBB8_16:                               ;   in Loop: Header=BB8_4 Depth=1
	v_pk_add_f32 v[8:9], v[8:9], v[16:17]
	global_store_dwordx2 v[2:3], v[8:9], off
	s_or_b64 exec, exec, s[8:9]
	s_and_saveexec_b64 s[8:9], s[0:1]
	s_cbranch_execz .LBB8_14
.LBB8_17:                               ;   in Loop: Header=BB8_4 Depth=1
	v_pk_add_f32 v[8:9], v[12:13], v[16:17]
	global_store_dwordx2 v[4:5], v[8:9], off
	s_or_b64 exec, exec, s[8:9]
	s_and_saveexec_b64 s[0:1], s[2:3]
	s_cbranch_execz .LBB8_15
.LBB8_18:                               ;   in Loop: Header=BB8_4 Depth=1
	v_pk_add_f32 v[8:9], v[10:11], v[16:17]
	v_mov_b32_e32 v11, s36
	v_add_co_u32_e32 v10, vcc, s35, v2
	v_addc_co_u32_e32 v11, vcc, v3, v11, vcc
	global_store_dwordx2 v[10:11], v[8:9], off
	s_or_b64 exec, exec, s[0:1]
	s_and_saveexec_b64 s[0:1], s[6:7]
	s_cbranch_execz .LBB8_3
.LBB8_19:                               ;   in Loop: Header=BB8_4 Depth=1
	v_mov_b32_e32 v11, s34
	v_add_co_u32_e32 v10, vcc, s33, v2
	v_pk_add_f32 v[8:9], v[14:15], v[16:17]
	v_addc_co_u32_e32 v11, vcc, v3, v11, vcc
	global_store_dwordx2 v[10:11], v[8:9], off
	s_branch .LBB8_3
.LBB8_20:
	s_cbranch_execz .LBB8_22
	s_branch .LBB8_25
.LBB8_21:
.LBB8_22:
	v_mov_b32_e32 v3, 0
	v_lshlrev_b32_e32 v2, 2, v0
	s_mov_b32 s0, 0
	v_cmp_gt_i64_e32 vcc, s[10:11], v[2:3]
	s_and_saveexec_b64 s[2:3], vcc
	s_cbranch_execz .LBB8_25
; %bb.23:
	s_load_dword s1, s[4:5], 0xd4c
	s_mov_b32 s4, s14
	s_mov_b32 s5, s14
	;; [unrolled: 1-line block ×3, first 2 shown]
	s_mov_b64 s[6:7], 0
	s_waitcnt lgkmcnt(0)
	s_and_b32 s1, s1, 0xffff
	s_lshl_b32 s20, s1, 2
	s_add_u32 s2, s16, s18
	v_add_lshl_u32 v2, v0, s1, 2
	v_lshlrev_b32_e32 v0, 5, v0
	s_addc_u32 s3, s17, s19
	v_mov_b32_e32 v1, s3
	v_add_co_u32_e32 v0, vcc, s2, v0
	v_addc_co_u32_e32 v1, vcc, 0, v1, vcc
	v_add_co_u32_e32 v0, vcc, 16, v0
	v_addc_co_u32_e32 v1, vcc, 0, v1, vcc
	s_lshl_b32 s16, s1, 5
	s_mov_b64 s[8:9], 0xffff
	v_mov_b32_e32 v6, s0
	v_mov_b32_e32 v7, s0
	v_pk_mov_b32 v[4:5], v[2:3], v[2:3] op_sel:[0,1]
.LBB8_24:                               ; =>This Inner Loop Header: Depth=1
	global_load_dwordx2 v[16:17], v3, s[12:13]
	global_load_dwordx4 v[8:11], v[0:1], off offset:-16
	global_load_dwordx4 v[12:15], v[0:1], off
	v_cmp_le_i64_e32 vcc, s[10:11], v[4:5]
	v_cmp_lt_u64_e64 s[0:1], s[8:9], v[4:5]
	s_or_b64 s[0:1], vcc, s[0:1]
	v_add_co_u32_e64 v4, s[2:3], s20, v4
	s_and_b64 s[0:1], exec, s[0:1]
	v_addc_co_u32_e64 v5, s[2:3], v5, v6, s[2:3]
	s_or_b64 s[6:7], s[0:1], s[6:7]
	s_waitcnt vmcnt(2)
	v_pk_mul_f32 v[18:19], v[16:17], s[14:15]
	v_pk_fma_f32 v[20:21], v[16:17], s[4:5], v[18:19] op_sel:[0,0,1] op_sel_hi:[1,1,0] neg_lo:[0,0,1] neg_hi:[0,0,1]
	v_pk_fma_f32 v[16:17], v[16:17], s[4:5], v[18:19] op_sel:[0,0,1] op_sel_hi:[1,1,0]
	v_mov_b32_e32 v21, v17
	s_waitcnt vmcnt(1)
	v_pk_add_f32 v[8:9], v[8:9], v[20:21]
	v_pk_add_f32 v[10:11], v[10:11], v[20:21]
	s_waitcnt vmcnt(0)
	v_pk_add_f32 v[12:13], v[12:13], v[20:21]
	v_pk_add_f32 v[14:15], v[14:15], v[20:21]
	global_store_dwordx4 v[0:1], v[8:11], off offset:-16
	global_store_dwordx4 v[0:1], v[12:15], off
	v_add_co_u32_e32 v0, vcc, s16, v0
	v_addc_co_u32_e32 v1, vcc, v1, v7, vcc
	s_andn2_b64 exec, exec, s[6:7]
	s_cbranch_execnz .LBB8_24
.LBB8_25:
	s_endpgm
	.section	.rodata,"a",@progbits
	.p2align	6, 0x0
	.amdhsa_kernel _ZN2at6native12_GLOBAL__N_125multi_tensor_apply_kernelINS1_18TensorListMetadataILi1EEENS1_27BinaryOpScalarTensorFunctorIN3c107complexIfEELi1ELi1ELi0EEEJSt4plusIS8_EPS8_S8_EEEvT_T0_DpT1_
		.amdhsa_group_segment_fixed_size 0
		.amdhsa_private_segment_fixed_size 0
		.amdhsa_kernarg_size 3648
		.amdhsa_user_sgpr_count 6
		.amdhsa_user_sgpr_private_segment_buffer 1
		.amdhsa_user_sgpr_dispatch_ptr 0
		.amdhsa_user_sgpr_queue_ptr 0
		.amdhsa_user_sgpr_kernarg_segment_ptr 1
		.amdhsa_user_sgpr_dispatch_id 0
		.amdhsa_user_sgpr_flat_scratch_init 0
		.amdhsa_user_sgpr_kernarg_preload_length 0
		.amdhsa_user_sgpr_kernarg_preload_offset 0
		.amdhsa_user_sgpr_private_segment_size 0
		.amdhsa_uses_dynamic_stack 0
		.amdhsa_system_sgpr_private_segment_wavefront_offset 0
		.amdhsa_system_sgpr_workgroup_id_x 1
		.amdhsa_system_sgpr_workgroup_id_y 0
		.amdhsa_system_sgpr_workgroup_id_z 0
		.amdhsa_system_sgpr_workgroup_info 0
		.amdhsa_system_vgpr_workitem_id 0
		.amdhsa_next_free_vgpr 30
		.amdhsa_next_free_sgpr 37
		.amdhsa_accum_offset 32
		.amdhsa_reserve_vcc 1
		.amdhsa_reserve_flat_scratch 0
		.amdhsa_float_round_mode_32 0
		.amdhsa_float_round_mode_16_64 0
		.amdhsa_float_denorm_mode_32 3
		.amdhsa_float_denorm_mode_16_64 3
		.amdhsa_dx10_clamp 1
		.amdhsa_ieee_mode 1
		.amdhsa_fp16_overflow 0
		.amdhsa_tg_split 0
		.amdhsa_exception_fp_ieee_invalid_op 0
		.amdhsa_exception_fp_denorm_src 0
		.amdhsa_exception_fp_ieee_div_zero 0
		.amdhsa_exception_fp_ieee_overflow 0
		.amdhsa_exception_fp_ieee_underflow 0
		.amdhsa_exception_fp_ieee_inexact 0
		.amdhsa_exception_int_div_zero 0
	.end_amdhsa_kernel
	.section	.text._ZN2at6native12_GLOBAL__N_125multi_tensor_apply_kernelINS1_18TensorListMetadataILi1EEENS1_27BinaryOpScalarTensorFunctorIN3c107complexIfEELi1ELi1ELi0EEEJSt4plusIS8_EPS8_S8_EEEvT_T0_DpT1_,"axG",@progbits,_ZN2at6native12_GLOBAL__N_125multi_tensor_apply_kernelINS1_18TensorListMetadataILi1EEENS1_27BinaryOpScalarTensorFunctorIN3c107complexIfEELi1ELi1ELi0EEEJSt4plusIS8_EPS8_S8_EEEvT_T0_DpT1_,comdat
.Lfunc_end8:
	.size	_ZN2at6native12_GLOBAL__N_125multi_tensor_apply_kernelINS1_18TensorListMetadataILi1EEENS1_27BinaryOpScalarTensorFunctorIN3c107complexIfEELi1ELi1ELi0EEEJSt4plusIS8_EPS8_S8_EEEvT_T0_DpT1_, .Lfunc_end8-_ZN2at6native12_GLOBAL__N_125multi_tensor_apply_kernelINS1_18TensorListMetadataILi1EEENS1_27BinaryOpScalarTensorFunctorIN3c107complexIfEELi1ELi1ELi0EEEJSt4plusIS8_EPS8_S8_EEEvT_T0_DpT1_
                                        ; -- End function
	.section	.AMDGPU.csdata,"",@progbits
; Kernel info:
; codeLenInByte = 1196
; NumSgprs: 41
; NumVgprs: 30
; NumAgprs: 0
; TotalNumVgprs: 30
; ScratchSize: 0
; MemoryBound: 0
; FloatMode: 240
; IeeeMode: 1
; LDSByteSize: 0 bytes/workgroup (compile time only)
; SGPRBlocks: 5
; VGPRBlocks: 3
; NumSGPRsForWavesPerEU: 41
; NumVGPRsForWavesPerEU: 30
; AccumOffset: 32
; Occupancy: 8
; WaveLimiterHint : 0
; COMPUTE_PGM_RSRC2:SCRATCH_EN: 0
; COMPUTE_PGM_RSRC2:USER_SGPR: 6
; COMPUTE_PGM_RSRC2:TRAP_HANDLER: 0
; COMPUTE_PGM_RSRC2:TGID_X_EN: 1
; COMPUTE_PGM_RSRC2:TGID_Y_EN: 0
; COMPUTE_PGM_RSRC2:TGID_Z_EN: 0
; COMPUTE_PGM_RSRC2:TIDIG_COMP_CNT: 0
; COMPUTE_PGM_RSRC3_GFX90A:ACCUM_OFFSET: 7
; COMPUTE_PGM_RSRC3_GFX90A:TG_SPLIT: 0
	.section	.text._ZN2at6native12_GLOBAL__N_125multi_tensor_apply_kernelINS1_18TensorListMetadataILi1EEENS1_27BinaryOpScalarTensorFunctorIbLi1ELi1ELi0EEEJSt4plusIbEPbbEEEvT_T0_DpT1_,"axG",@progbits,_ZN2at6native12_GLOBAL__N_125multi_tensor_apply_kernelINS1_18TensorListMetadataILi1EEENS1_27BinaryOpScalarTensorFunctorIbLi1ELi1ELi0EEEJSt4plusIbEPbbEEEvT_T0_DpT1_,comdat
	.globl	_ZN2at6native12_GLOBAL__N_125multi_tensor_apply_kernelINS1_18TensorListMetadataILi1EEENS1_27BinaryOpScalarTensorFunctorIbLi1ELi1ELi0EEEJSt4plusIbEPbbEEEvT_T0_DpT1_ ; -- Begin function _ZN2at6native12_GLOBAL__N_125multi_tensor_apply_kernelINS1_18TensorListMetadataILi1EEENS1_27BinaryOpScalarTensorFunctorIbLi1ELi1ELi0EEEJSt4plusIbEPbbEEEvT_T0_DpT1_
	.p2align	8
	.type	_ZN2at6native12_GLOBAL__N_125multi_tensor_apply_kernelINS1_18TensorListMetadataILi1EEENS1_27BinaryOpScalarTensorFunctorIbLi1ELi1ELi0EEEJSt4plusIbEPbbEEEvT_T0_DpT1_,@function
_ZN2at6native12_GLOBAL__N_125multi_tensor_apply_kernelINS1_18TensorListMetadataILi1EEENS1_27BinaryOpScalarTensorFunctorIbLi1ELi1ELi0EEEJSt4plusIbEPbbEEEvT_T0_DpT1_: ; @_ZN2at6native12_GLOBAL__N_125multi_tensor_apply_kernelINS1_18TensorListMetadataILi1EEENS1_27BinaryOpScalarTensorFunctorIbLi1ELi1ELi0EEEJSt4plusIbEPbbEEEvT_T0_DpT1_
; %bb.0:
	v_mov_b32_e32 v1, s6
	global_load_ubyte v1, v1, s[4:5] offset:1760
	s_load_dword s0, s[4:5], 0xd38
	s_mul_i32 s2, s6, 3
	s_mul_hi_u32 s1, s6, 3
	s_waitcnt lgkmcnt(0)
	s_bitcmp1_b32 s0, 0
	s_cselect_b64 s[10:11], -1, 0
	s_add_u32 s0, s4, s6
	s_addc_u32 s3, s5, 0
	s_add_u32 s0, s0, s2
	s_addc_u32 s1, s3, s1
	s_load_dword s2, s[0:1], 0x820
	s_waitcnt vmcnt(0)
	v_readfirstlane_b32 s0, v1
	s_lshl_b32 s3, s0, 3
	s_load_dwordx2 s[0:1], s[4:5], s3 offset:0x0
	s_load_dwordx2 s[12:13], s[4:5], 0xd30
	s_load_dwordx2 s[6:7], s[4:5], s3 offset:0x370
	s_waitcnt lgkmcnt(0)
	s_ashr_i32 s3, s2, 31
	s_lshl_b64 s[2:3], s[2:3], 16
	s_add_u32 s22, s0, s2
	s_addc_u32 s23, s1, s3
	s_sub_u32 s14, s6, s2
	s_subb_u32 s15, s7, s3
	s_or_b32 s6, s6, s22
	s_and_b32 s6, s6, 3
	s_cmp_eq_u32 s6, 0
	s_cbranch_scc1 .LBB9_21
; %bb.1:
	v_cmp_lt_i64_e64 s[6:7], s[14:15], 1
	s_and_b64 vcc, exec, s[6:7]
	s_cbranch_vccnz .LBB9_20
; %bb.2:
	s_load_dword s6, s[4:5], 0xd4c
	v_mov_b32_e32 v2, 0x10000
	v_mov_b32_e32 v3, 0
	v_cmp_lt_u64_e32 vcc, s[14:15], v[2:3]
	v_mov_b32_e32 v4, s3
	s_waitcnt lgkmcnt(0)
	s_and_b32 s8, s6, 0xffff
	s_and_b64 s[6:7], vcc, exec
	s_cselect_b32 s17, s15, 0
	s_cselect_b32 s16, s14, 0x10000
	s_lshl_b32 s9, s8, 1
	s_mul_i32 s6, s8, 3
	s_lshl_b32 s24, s8, 2
	s_add_u32 s7, s2, s6
	v_add_co_u32_e32 v5, vcc, s2, v0
	s_addc_u32 s18, s3, 0
	v_addc_co_u32_e32 v4, vcc, 0, v4, vcc
	s_add_u32 s7, s0, s7
	v_mov_b32_e32 v7, s1
	v_add_co_u32_e32 v6, vcc, s0, v5
	s_addc_u32 s18, s1, s18
	v_addc_co_u32_e32 v7, vcc, v7, v4, vcc
	s_add_u32 s2, s2, s9
	v_mov_b32_e32 v9, s18
	v_add_co_u32_e32 v8, vcc, s7, v0
	s_addc_u32 s3, s3, 0
	v_addc_co_u32_e32 v9, vcc, 0, v9, vcc
	s_add_u32 s2, s0, s2
	v_add_co_u32_e32 v10, vcc, s6, v0
	s_addc_u32 s3, s1, s3
	v_addc_co_u32_e64 v11, s[6:7], 0, 0, vcc
	v_mov_b32_e32 v13, s3
	v_add_co_u32_e32 v12, vcc, s2, v0
	v_addc_co_u32_e32 v13, vcc, 0, v13, vcc
	s_add_u32 s0, s0, s8
	v_add_co_u32_e32 v14, vcc, s9, v0
	s_addc_u32 s1, s1, 0
	v_addc_co_u32_e64 v15, s[2:3], 0, 0, vcc
	v_mov_b32_e32 v17, s1
	v_add_co_u32_e32 v16, vcc, s0, v5
	v_addc_co_u32_e32 v17, vcc, v17, v4, vcc
	v_add_co_u32_e32 v18, vcc, s8, v0
	v_mov_b32_e32 v1, 0
	v_addc_co_u32_e64 v19, s[0:1], 0, 0, vcc
	s_mov_b64 s[18:19], 0
	v_pk_mov_b32 v[4:5], s[14:15], s[14:15] op_sel:[0,1]
	s_branch .LBB9_4
.LBB9_3:                                ;   in Loop: Header=BB9_4 Depth=1
	s_or_b64 exec, exec, s[0:1]
	s_add_u32 s18, s18, s24
	s_addc_u32 s19, s19, 0
	v_cmp_lt_i64_e32 vcc, s[18:19], v[4:5]
	v_cmp_lt_u64_e64 s[0:1], s[18:19], v[2:3]
	s_and_b64 s[0:1], vcc, s[0:1]
	s_and_b64 vcc, exec, s[0:1]
	s_cbranch_vccz .LBB9_20
.LBB9_4:                                ; =>This Inner Loop Header: Depth=1
	v_mov_b32_e32 v21, s19
	v_add_co_u32_e32 v20, vcc, s18, v0
	v_addc_co_u32_e32 v21, vcc, 0, v21, vcc
	v_cmp_gt_u64_e32 vcc, s[16:17], v[20:21]
	v_mov_b32_e32 v21, 0
	s_and_saveexec_b64 s[2:3], vcc
	s_cbranch_execz .LBB9_6
; %bb.5:                                ;   in Loop: Header=BB9_4 Depth=1
	v_mov_b32_e32 v21, s19
	v_add_co_u32_e64 v20, s[0:1], s18, v6
	v_addc_co_u32_e64 v21, s[0:1], v7, v21, s[0:1]
	global_load_ubyte v21, v[20:21], off
.LBB9_6:                                ;   in Loop: Header=BB9_4 Depth=1
	s_or_b64 exec, exec, s[2:3]
	v_mov_b32_e32 v20, s19
	v_add_co_u32_e64 v22, s[0:1], s18, v18
	v_addc_co_u32_e64 v23, s[0:1], v19, v20, s[0:1]
	v_cmp_gt_u64_e64 s[0:1], s[16:17], v[22:23]
	v_mov_b32_e32 v20, 0
	v_mov_b32_e32 v22, 0
	s_and_saveexec_b64 s[6:7], s[0:1]
	s_cbranch_execz .LBB9_8
; %bb.7:                                ;   in Loop: Header=BB9_4 Depth=1
	v_mov_b32_e32 v23, s19
	v_add_co_u32_e64 v22, s[2:3], s18, v16
	v_addc_co_u32_e64 v23, s[2:3], v17, v23, s[2:3]
	global_load_ubyte v22, v[22:23], off
.LBB9_8:                                ;   in Loop: Header=BB9_4 Depth=1
	s_or_b64 exec, exec, s[6:7]
	v_mov_b32_e32 v23, s19
	v_add_co_u32_e64 v24, s[2:3], s18, v14
	v_addc_co_u32_e64 v25, s[2:3], v15, v23, s[2:3]
	v_cmp_gt_u64_e64 s[2:3], s[16:17], v[24:25]
	s_and_saveexec_b64 s[8:9], s[2:3]
	s_cbranch_execz .LBB9_10
; %bb.9:                                ;   in Loop: Header=BB9_4 Depth=1
	v_mov_b32_e32 v20, s19
	v_add_co_u32_e64 v24, s[6:7], s18, v12
	v_addc_co_u32_e64 v25, s[6:7], v13, v20, s[6:7]
	global_load_ubyte v20, v[24:25], off
.LBB9_10:                               ;   in Loop: Header=BB9_4 Depth=1
	s_or_b64 exec, exec, s[8:9]
	v_mov_b32_e32 v23, s19
	v_add_co_u32_e64 v24, s[6:7], s18, v10
	v_addc_co_u32_e64 v25, s[6:7], v11, v23, s[6:7]
	v_cmp_gt_u64_e64 s[6:7], s[16:17], v[24:25]
	v_mov_b32_e32 v23, 0
	s_and_saveexec_b64 s[20:21], s[6:7]
	s_cbranch_execz .LBB9_12
; %bb.11:                               ;   in Loop: Header=BB9_4 Depth=1
	v_mov_b32_e32 v23, s19
	v_add_co_u32_e64 v24, s[8:9], s18, v8
	v_addc_co_u32_e64 v25, s[8:9], v9, v23, s[8:9]
	global_load_ubyte v23, v[24:25], off
.LBB9_12:                               ;   in Loop: Header=BB9_4 Depth=1
	s_or_b64 exec, exec, s[20:21]
	global_load_ubyte v24, v1, s[12:13]
	s_waitcnt vmcnt(0)
	v_cmp_ne_u16_e64 s[8:9], 0, v24
	s_and_b64 s[8:9], s[8:9], s[10:11]
	v_cndmask_b32_e64 v24, 0, 1, s[8:9]
	s_and_saveexec_b64 s[8:9], vcc
	s_cbranch_execnz .LBB9_16
; %bb.13:                               ;   in Loop: Header=BB9_4 Depth=1
	s_or_b64 exec, exec, s[8:9]
	s_and_saveexec_b64 s[8:9], s[0:1]
	s_cbranch_execnz .LBB9_17
.LBB9_14:                               ;   in Loop: Header=BB9_4 Depth=1
	s_or_b64 exec, exec, s[8:9]
	s_and_saveexec_b64 s[0:1], s[2:3]
	s_cbranch_execnz .LBB9_18
.LBB9_15:                               ;   in Loop: Header=BB9_4 Depth=1
	s_or_b64 exec, exec, s[0:1]
	s_and_saveexec_b64 s[0:1], s[6:7]
	s_cbranch_execz .LBB9_3
	s_branch .LBB9_19
.LBB9_16:                               ;   in Loop: Header=BB9_4 Depth=1
	v_mov_b32_e32 v25, s19
	v_add_co_u32_e32 v26, vcc, s18, v6
	v_addc_co_u32_e32 v27, vcc, v7, v25, vcc
	v_or_b32_e32 v21, v21, v24
	global_store_byte v[26:27], v21, off
	s_or_b64 exec, exec, s[8:9]
	s_and_saveexec_b64 s[8:9], s[0:1]
	s_cbranch_execz .LBB9_14
.LBB9_17:                               ;   in Loop: Header=BB9_4 Depth=1
	v_or_b32_e32 v21, v22, v24
	v_mov_b32_e32 v22, s19
	v_add_co_u32_e32 v26, vcc, s18, v16
	v_addc_co_u32_e32 v27, vcc, v17, v22, vcc
	global_store_byte v[26:27], v21, off
	s_or_b64 exec, exec, s[8:9]
	s_and_saveexec_b64 s[0:1], s[2:3]
	s_cbranch_execz .LBB9_15
.LBB9_18:                               ;   in Loop: Header=BB9_4 Depth=1
	v_or_b32_e32 v22, v20, v24
	v_mov_b32_e32 v21, s19
	v_add_co_u32_e32 v20, vcc, s18, v12
	v_addc_co_u32_e32 v21, vcc, v13, v21, vcc
	global_store_byte v[20:21], v22, off
	s_or_b64 exec, exec, s[0:1]
	s_and_saveexec_b64 s[0:1], s[6:7]
	s_cbranch_execz .LBB9_3
.LBB9_19:                               ;   in Loop: Header=BB9_4 Depth=1
	v_mov_b32_e32 v21, s19
	v_add_co_u32_e32 v20, vcc, s18, v8
	v_or_b32_e32 v22, v23, v24
	v_addc_co_u32_e32 v21, vcc, v9, v21, vcc
	global_store_byte v[20:21], v22, off
	s_branch .LBB9_3
.LBB9_20:
	s_cbranch_execz .LBB9_22
	s_branch .LBB9_25
.LBB9_21:
.LBB9_22:
	v_lshlrev_b32_e32 v0, 2, v0
	v_mov_b32_e32 v1, 0
	v_cmp_gt_i64_e32 vcc, s[14:15], v[0:1]
	s_and_saveexec_b64 s[0:1], vcc
	s_cbranch_execz .LBB9_25
; %bb.23:
	s_load_dword s0, s[4:5], 0xd4c
	s_mov_b32 s1, 0
	s_mov_b64 s[2:3], 0
	v_mov_b32_e32 v4, s23
	v_mov_b32_e32 v5, s1
	s_waitcnt lgkmcnt(0)
	s_and_b32 s0, s0, 0xffff
	s_lshl_b32 s6, s0, 2
	s_mov_b64 s[4:5], 0xffff
	v_mov_b32_e32 v6, 8
	v_pk_mov_b32 v[2:3], v[0:1], v[0:1] op_sel:[0,1]
.LBB9_24:                               ; =>This Inner Loop Header: Depth=1
	v_add_co_u32_e32 v8, vcc, s22, v2
	v_addc_co_u32_e32 v9, vcc, v4, v3, vcc
	global_load_ubyte v0, v1, s[12:13]
	global_load_dword v7, v[8:9], off
	v_add_co_u32_e32 v2, vcc, s6, v2
	v_addc_co_u32_e32 v3, vcc, v5, v3, vcc
	v_cmp_le_i64_e32 vcc, s[14:15], v[2:3]
	v_cmp_lt_u64_e64 s[0:1], s[4:5], v[2:3]
	s_or_b64 s[0:1], vcc, s[0:1]
	s_waitcnt vmcnt(1)
	v_cmp_ne_u16_e32 vcc, 0, v0
	s_and_b64 s[8:9], vcc, s[10:11]
	v_cndmask_b32_e64 v10, 0, 1, s[8:9]
	s_waitcnt vmcnt(0)
	v_lshrrev_b32_e32 v0, 8, v7
	v_or_b32_sdwa v12, v10, v7 dst_sel:DWORD dst_unused:UNUSED_PAD src0_sel:DWORD src1_sel:WORD_1
	v_or_b32_e32 v11, v10, v7
	v_or_b32_e32 v0, v10, v0
	v_or_b32_sdwa v7, v10, v7 dst_sel:DWORD dst_unused:UNUSED_PAD src0_sel:DWORD src1_sel:BYTE_3
	v_and_b32_e32 v10, 0xff, v12
	v_lshlrev_b32_e32 v10, 16, v10
	s_and_b64 s[0:1], exec, s[0:1]
	v_lshlrev_b32_sdwa v0, v6, v0 dst_sel:DWORD dst_unused:UNUSED_PAD src0_sel:DWORD src1_sel:BYTE_0
	v_and_b32_e32 v11, 0xff, v11
	v_lshl_or_b32 v7, v7, 24, v10
	s_or_b64 s[2:3], s[0:1], s[2:3]
	v_or3_b32 v0, v7, v0, v11
	global_store_dword v[8:9], v0, off
	s_andn2_b64 exec, exec, s[2:3]
	s_cbranch_execnz .LBB9_24
.LBB9_25:
	s_endpgm
	.section	.rodata,"a",@progbits
	.p2align	6, 0x0
	.amdhsa_kernel _ZN2at6native12_GLOBAL__N_125multi_tensor_apply_kernelINS1_18TensorListMetadataILi1EEENS1_27BinaryOpScalarTensorFunctorIbLi1ELi1ELi0EEEJSt4plusIbEPbbEEEvT_T0_DpT1_
		.amdhsa_group_segment_fixed_size 0
		.amdhsa_private_segment_fixed_size 0
		.amdhsa_kernarg_size 3648
		.amdhsa_user_sgpr_count 6
		.amdhsa_user_sgpr_private_segment_buffer 1
		.amdhsa_user_sgpr_dispatch_ptr 0
		.amdhsa_user_sgpr_queue_ptr 0
		.amdhsa_user_sgpr_kernarg_segment_ptr 1
		.amdhsa_user_sgpr_dispatch_id 0
		.amdhsa_user_sgpr_flat_scratch_init 0
		.amdhsa_user_sgpr_kernarg_preload_length 0
		.amdhsa_user_sgpr_kernarg_preload_offset 0
		.amdhsa_user_sgpr_private_segment_size 0
		.amdhsa_uses_dynamic_stack 0
		.amdhsa_system_sgpr_private_segment_wavefront_offset 0
		.amdhsa_system_sgpr_workgroup_id_x 1
		.amdhsa_system_sgpr_workgroup_id_y 0
		.amdhsa_system_sgpr_workgroup_id_z 0
		.amdhsa_system_sgpr_workgroup_info 0
		.amdhsa_system_vgpr_workitem_id 0
		.amdhsa_next_free_vgpr 28
		.amdhsa_next_free_sgpr 25
		.amdhsa_accum_offset 28
		.amdhsa_reserve_vcc 1
		.amdhsa_reserve_flat_scratch 0
		.amdhsa_float_round_mode_32 0
		.amdhsa_float_round_mode_16_64 0
		.amdhsa_float_denorm_mode_32 3
		.amdhsa_float_denorm_mode_16_64 3
		.amdhsa_dx10_clamp 1
		.amdhsa_ieee_mode 1
		.amdhsa_fp16_overflow 0
		.amdhsa_tg_split 0
		.amdhsa_exception_fp_ieee_invalid_op 0
		.amdhsa_exception_fp_denorm_src 0
		.amdhsa_exception_fp_ieee_div_zero 0
		.amdhsa_exception_fp_ieee_overflow 0
		.amdhsa_exception_fp_ieee_underflow 0
		.amdhsa_exception_fp_ieee_inexact 0
		.amdhsa_exception_int_div_zero 0
	.end_amdhsa_kernel
	.section	.text._ZN2at6native12_GLOBAL__N_125multi_tensor_apply_kernelINS1_18TensorListMetadataILi1EEENS1_27BinaryOpScalarTensorFunctorIbLi1ELi1ELi0EEEJSt4plusIbEPbbEEEvT_T0_DpT1_,"axG",@progbits,_ZN2at6native12_GLOBAL__N_125multi_tensor_apply_kernelINS1_18TensorListMetadataILi1EEENS1_27BinaryOpScalarTensorFunctorIbLi1ELi1ELi0EEEJSt4plusIbEPbbEEEvT_T0_DpT1_,comdat
.Lfunc_end9:
	.size	_ZN2at6native12_GLOBAL__N_125multi_tensor_apply_kernelINS1_18TensorListMetadataILi1EEENS1_27BinaryOpScalarTensorFunctorIbLi1ELi1ELi0EEEJSt4plusIbEPbbEEEvT_T0_DpT1_, .Lfunc_end9-_ZN2at6native12_GLOBAL__N_125multi_tensor_apply_kernelINS1_18TensorListMetadataILi1EEENS1_27BinaryOpScalarTensorFunctorIbLi1ELi1ELi0EEEJSt4plusIbEPbbEEEvT_T0_DpT1_
                                        ; -- End function
	.section	.AMDGPU.csdata,"",@progbits
; Kernel info:
; codeLenInByte = 1168
; NumSgprs: 29
; NumVgprs: 28
; NumAgprs: 0
; TotalNumVgprs: 28
; ScratchSize: 0
; MemoryBound: 0
; FloatMode: 240
; IeeeMode: 1
; LDSByteSize: 0 bytes/workgroup (compile time only)
; SGPRBlocks: 3
; VGPRBlocks: 3
; NumSGPRsForWavesPerEU: 29
; NumVGPRsForWavesPerEU: 28
; AccumOffset: 28
; Occupancy: 8
; WaveLimiterHint : 0
; COMPUTE_PGM_RSRC2:SCRATCH_EN: 0
; COMPUTE_PGM_RSRC2:USER_SGPR: 6
; COMPUTE_PGM_RSRC2:TRAP_HANDLER: 0
; COMPUTE_PGM_RSRC2:TGID_X_EN: 1
; COMPUTE_PGM_RSRC2:TGID_Y_EN: 0
; COMPUTE_PGM_RSRC2:TGID_Z_EN: 0
; COMPUTE_PGM_RSRC2:TIDIG_COMP_CNT: 0
; COMPUTE_PGM_RSRC3_GFX90A:ACCUM_OFFSET: 6
; COMPUTE_PGM_RSRC3_GFX90A:TG_SPLIT: 0
	.section	.text._ZN2at6native12_GLOBAL__N_125multi_tensor_apply_kernelINS1_18TensorListMetadataILi1EEENS1_27BinaryOpScalarTensorFunctorIN3c104HalfELi1ELi1ELi0EEEJSt4plusIfEPS7_fEEEvT_T0_DpT1_,"axG",@progbits,_ZN2at6native12_GLOBAL__N_125multi_tensor_apply_kernelINS1_18TensorListMetadataILi1EEENS1_27BinaryOpScalarTensorFunctorIN3c104HalfELi1ELi1ELi0EEEJSt4plusIfEPS7_fEEEvT_T0_DpT1_,comdat
	.globl	_ZN2at6native12_GLOBAL__N_125multi_tensor_apply_kernelINS1_18TensorListMetadataILi1EEENS1_27BinaryOpScalarTensorFunctorIN3c104HalfELi1ELi1ELi0EEEJSt4plusIfEPS7_fEEEvT_T0_DpT1_ ; -- Begin function _ZN2at6native12_GLOBAL__N_125multi_tensor_apply_kernelINS1_18TensorListMetadataILi1EEENS1_27BinaryOpScalarTensorFunctorIN3c104HalfELi1ELi1ELi0EEEJSt4plusIfEPS7_fEEEvT_T0_DpT1_
	.p2align	8
	.type	_ZN2at6native12_GLOBAL__N_125multi_tensor_apply_kernelINS1_18TensorListMetadataILi1EEENS1_27BinaryOpScalarTensorFunctorIN3c104HalfELi1ELi1ELi0EEEJSt4plusIfEPS7_fEEEvT_T0_DpT1_,@function
_ZN2at6native12_GLOBAL__N_125multi_tensor_apply_kernelINS1_18TensorListMetadataILi1EEENS1_27BinaryOpScalarTensorFunctorIN3c104HalfELi1ELi1ELi0EEEJSt4plusIfEPS7_fEEEvT_T0_DpT1_: ; @_ZN2at6native12_GLOBAL__N_125multi_tensor_apply_kernelINS1_18TensorListMetadataILi1EEENS1_27BinaryOpScalarTensorFunctorIN3c104HalfELi1ELi1ELi0EEEJSt4plusIfEPS7_fEEEvT_T0_DpT1_
; %bb.0:
	v_mov_b32_e32 v1, s6
	global_load_ubyte v1, v1, s[4:5] offset:1760
	s_add_u32 s0, s4, s6
	s_mul_hi_u32 s1, s6, 3
	s_mul_i32 s6, s6, 3
	s_addc_u32 s2, s5, 0
	s_add_u32 s0, s0, s6
	s_addc_u32 s1, s2, s1
	s_load_dword s0, s[0:1], 0x820
	s_mov_b32 s7, 0
	s_load_dword s24, s[4:5], 0xd38
	s_waitcnt vmcnt(0)
	v_readfirstlane_b32 s1, v1
	s_lshl_b32 s1, s1, 3
	s_load_dwordx2 s[10:11], s[4:5], 0xd30
	s_load_dwordx2 s[2:3], s[4:5], s1 offset:0x370
	s_load_dwordx2 s[14:15], s[4:5], s1 offset:0x0
	s_waitcnt lgkmcnt(0)
	s_ashr_i32 s1, s0, 31
	s_lshl_b64 s[16:17], s[0:1], 17
	s_lshl_b64 s[0:1], s[0:1], 16
	s_and_b32 s6, s14, 7
	s_sub_u32 s12, s2, s0
	s_subb_u32 s13, s3, s1
	s_and_b32 s0, s2, 3
	s_mov_b32 s1, s7
	s_or_b64 s[0:1], s[6:7], s[0:1]
	s_cmp_eq_u64 s[0:1], 0
	s_cbranch_scc1 .LBB10_21
; %bb.1:
	v_cmp_lt_i64_e64 s[0:1], s[12:13], 1
	s_and_b64 vcc, exec, s[0:1]
	s_cbranch_vccnz .LBB10_20
; %bb.2:
	s_load_dword s0, s[4:5], 0xd4c
	v_mov_b32_e32 v2, 0x10000
	v_mov_b32_e32 v3, 0
	v_cmp_lt_u64_e32 vcc, s[12:13], v[2:3]
	v_lshlrev_b32_e32 v4, 1, v0
	s_waitcnt lgkmcnt(0)
	s_and_b32 s2, s0, 0xffff
	s_and_b64 s[0:1], vcc, exec
	s_cselect_b32 s19, s13, 0
	s_cselect_b32 s18, s12, 0x10000
	s_lshl_b32 s3, s2, 1
	s_lshl_b32 s26, s2, 2
	s_add_u32 s6, s14, s16
	s_addc_u32 s7, s15, s17
	v_mov_b32_e32 v5, s7
	v_add_co_u32_e32 v4, vcc, s6, v4
	s_mul_i32 s0, s2, 3
	v_addc_co_u32_e32 v5, vcc, 0, v5, vcc
	v_add_co_u32_e32 v10, vcc, s0, v0
	v_addc_co_u32_e64 v11, s[0:1], 0, 0, vcc
	v_add_co_u32_e32 v12, vcc, s3, v0
	v_addc_co_u32_e64 v13, s[0:1], 0, 0, vcc
	v_add_co_u32_e32 v14, vcc, s2, v0
	v_lshlrev_b32_e32 v6, 1, v14
	s_mov_b32 s25, 0
	v_addc_co_u32_e64 v15, s[0:1], 0, 0, vcc
	v_mov_b32_e32 v7, s7
	v_add_co_u32_e32 v6, vcc, s6, v6
	v_mov_b32_e32 v1, 0
	s_lshl_b32 s27, s2, 3
	s_mul_i32 s28, s2, 6
	s_mov_b32 s29, s25
	v_addc_co_u32_e32 v7, vcc, 0, v7, vcc
	s_mov_b64 s[20:21], 0
	v_pk_mov_b32 v[8:9], s[12:13], s[12:13] op_sel:[0,1]
	v_mov_b32_e32 v16, s25
	s_branch .LBB10_4
.LBB10_3:                               ;   in Loop: Header=BB10_4 Depth=1
	s_or_b64 exec, exec, s[0:1]
	s_add_u32 s20, s20, s26
	s_addc_u32 s21, s21, 0
	v_cmp_lt_i64_e32 vcc, s[20:21], v[8:9]
	v_cmp_lt_u64_e64 s[0:1], s[20:21], v[2:3]
	s_and_b64 s[0:1], vcc, s[0:1]
	v_add_co_u32_e32 v4, vcc, s27, v4
	v_addc_co_u32_e32 v5, vcc, v5, v16, vcc
	v_add_co_u32_e32 v6, vcc, s27, v6
	v_addc_co_u32_e32 v7, vcc, v7, v16, vcc
	s_and_b64 vcc, exec, s[0:1]
	s_cbranch_vccz .LBB10_20
.LBB10_4:                               ; =>This Inner Loop Header: Depth=1
	v_mov_b32_e32 v17, s21
	v_add_co_u32_e32 v18, vcc, s20, v0
	v_addc_co_u32_e32 v19, vcc, 0, v17, vcc
	v_cmp_gt_u64_e32 vcc, s[18:19], v[18:19]
	v_mov_b32_e32 v17, 0
	s_and_saveexec_b64 s[0:1], vcc
	s_cbranch_execz .LBB10_6
; %bb.5:                                ;   in Loop: Header=BB10_4 Depth=1
	global_load_ushort v17, v[4:5], off
.LBB10_6:                               ;   in Loop: Header=BB10_4 Depth=1
	s_or_b64 exec, exec, s[0:1]
	v_mov_b32_e32 v19, s21
	v_add_co_u32_e64 v18, s[0:1], s20, v14
	v_addc_co_u32_e64 v19, s[0:1], v15, v19, s[0:1]
	v_cmp_gt_u64_e64 s[0:1], s[18:19], v[18:19]
	v_mov_b32_e32 v18, 0
	v_mov_b32_e32 v19, 0
	s_and_saveexec_b64 s[2:3], s[0:1]
	s_cbranch_execz .LBB10_8
; %bb.7:                                ;   in Loop: Header=BB10_4 Depth=1
	global_load_ushort v19, v[6:7], off
.LBB10_8:                               ;   in Loop: Header=BB10_4 Depth=1
	s_or_b64 exec, exec, s[2:3]
	v_mov_b32_e32 v21, s21
	v_add_co_u32_e64 v20, s[2:3], s20, v12
	v_addc_co_u32_e64 v21, s[2:3], v13, v21, s[2:3]
	v_cmp_gt_u64_e64 s[2:3], s[18:19], v[20:21]
	s_and_saveexec_b64 s[8:9], s[2:3]
	s_cbranch_execz .LBB10_10
; %bb.9:                                ;   in Loop: Header=BB10_4 Depth=1
	v_mov_b32_e32 v18, s25
	v_add_co_u32_e64 v20, s[6:7], s26, v4
	v_addc_co_u32_e64 v21, s[6:7], v5, v18, s[6:7]
	global_load_ushort v18, v[20:21], off
.LBB10_10:                              ;   in Loop: Header=BB10_4 Depth=1
	s_or_b64 exec, exec, s[8:9]
	v_mov_b32_e32 v21, s21
	v_add_co_u32_e64 v20, s[6:7], s20, v10
	v_addc_co_u32_e64 v21, s[6:7], v11, v21, s[6:7]
	v_cmp_gt_u64_e64 s[6:7], s[18:19], v[20:21]
	v_mov_b32_e32 v20, 0
	s_and_saveexec_b64 s[22:23], s[6:7]
	s_cbranch_execz .LBB10_12
; %bb.11:                               ;   in Loop: Header=BB10_4 Depth=1
	v_mov_b32_e32 v21, s29
	v_add_co_u32_e64 v20, s[8:9], s28, v4
	v_addc_co_u32_e64 v21, s[8:9], v5, v21, s[8:9]
	global_load_ushort v20, v[20:21], off
.LBB10_12:                              ;   in Loop: Header=BB10_4 Depth=1
	s_or_b64 exec, exec, s[22:23]
	global_load_ushort v21, v1, s[10:11]
	s_waitcnt vmcnt(0)
	v_cvt_f32_f16_e32 v21, v21
	v_mul_f32_e32 v21, s24, v21
	s_and_saveexec_b64 s[8:9], vcc
	s_cbranch_execnz .LBB10_16
; %bb.13:                               ;   in Loop: Header=BB10_4 Depth=1
	s_or_b64 exec, exec, s[8:9]
	s_and_saveexec_b64 s[8:9], s[0:1]
	s_cbranch_execnz .LBB10_17
.LBB10_14:                              ;   in Loop: Header=BB10_4 Depth=1
	s_or_b64 exec, exec, s[8:9]
	s_and_saveexec_b64 s[0:1], s[2:3]
	s_cbranch_execnz .LBB10_18
.LBB10_15:                              ;   in Loop: Header=BB10_4 Depth=1
	s_or_b64 exec, exec, s[0:1]
	s_and_saveexec_b64 s[0:1], s[6:7]
	s_cbranch_execz .LBB10_3
	s_branch .LBB10_19
.LBB10_16:                              ;   in Loop: Header=BB10_4 Depth=1
	v_cvt_f32_f16_e32 v17, v17
	v_add_f32_e32 v17, v21, v17
	v_cvt_f16_f32_e32 v17, v17
	global_store_short v[4:5], v17, off
	s_or_b64 exec, exec, s[8:9]
	s_and_saveexec_b64 s[8:9], s[0:1]
	s_cbranch_execz .LBB10_14
.LBB10_17:                              ;   in Loop: Header=BB10_4 Depth=1
	v_cvt_f32_f16_e32 v17, v19
	v_add_f32_e32 v17, v21, v17
	v_cvt_f16_f32_e32 v17, v17
	global_store_short v[6:7], v17, off
	s_or_b64 exec, exec, s[8:9]
	s_and_saveexec_b64 s[0:1], s[2:3]
	s_cbranch_execz .LBB10_15
.LBB10_18:                              ;   in Loop: Header=BB10_4 Depth=1
	v_cvt_f32_f16_e32 v17, v18
	v_mov_b32_e32 v19, s25
	v_add_co_u32_e32 v18, vcc, s26, v4
	v_add_f32_e32 v17, v21, v17
	v_cvt_f16_f32_e32 v17, v17
	v_addc_co_u32_e32 v19, vcc, v5, v19, vcc
	global_store_short v[18:19], v17, off
	s_or_b64 exec, exec, s[0:1]
	s_and_saveexec_b64 s[0:1], s[6:7]
	s_cbranch_execz .LBB10_3
.LBB10_19:                              ;   in Loop: Header=BB10_4 Depth=1
	v_cvt_f32_f16_e32 v17, v20
	v_mov_b32_e32 v19, s29
	v_add_co_u32_e32 v18, vcc, s28, v4
	v_add_f32_e32 v17, v21, v17
	v_cvt_f16_f32_e32 v17, v17
	v_addc_co_u32_e32 v19, vcc, v5, v19, vcc
	global_store_short v[18:19], v17, off
	s_branch .LBB10_3
.LBB10_20:
	s_cbranch_execz .LBB10_22
	s_branch .LBB10_25
.LBB10_21:
.LBB10_22:
	v_mov_b32_e32 v3, 0
	v_lshlrev_b32_e32 v2, 2, v0
	s_mov_b32 s0, 0
	v_cmp_gt_i64_e32 vcc, s[12:13], v[2:3]
	s_and_saveexec_b64 s[2:3], vcc
	s_cbranch_execz .LBB10_25
; %bb.23:
	s_load_dword s1, s[4:5], 0xd4c
	v_lshlrev_b32_e32 v1, 3, v0
	s_mov_b64 s[4:5], 0xffff
	v_mov_b32_e32 v6, s0
	v_mov_b32_e32 v7, s0
	s_waitcnt lgkmcnt(0)
	s_and_b32 s1, s1, 0xffff
	s_add_u32 s2, s14, s16
	s_addc_u32 s3, s15, s17
	v_mov_b32_e32 v2, s3
	v_add_co_u32_e32 v4, vcc, s2, v1
	v_addc_co_u32_e32 v5, vcc, 0, v2, vcc
	v_add_lshl_u32 v2, v0, s1, 2
	s_lshl_b32 s6, s1, 3
	s_lshl_b32 s7, s1, 2
	s_mov_b64 s[2:3], 0
	v_pk_mov_b32 v[0:1], v[2:3], v[2:3] op_sel:[0,1]
.LBB10_24:                              ; =>This Inner Loop Header: Depth=1
	global_load_ushort v2, v3, s[10:11]
	global_load_dwordx2 v[8:9], v[4:5], off
	v_cmp_le_i64_e32 vcc, s[12:13], v[0:1]
	v_cmp_lt_u64_e64 s[0:1], s[4:5], v[0:1]
	s_or_b64 s[0:1], vcc, s[0:1]
	s_and_b64 s[0:1], exec, s[0:1]
	s_or_b64 s[2:3], s[0:1], s[2:3]
	s_waitcnt vmcnt(1)
	v_cvt_f32_f16_e32 v2, v2
	s_waitcnt vmcnt(0)
	v_cvt_f32_f16_sdwa v11, v9 dst_sel:DWORD dst_unused:UNUSED_PAD src0_sel:WORD_1
	v_cvt_f32_f16_sdwa v13, v8 dst_sel:DWORD dst_unused:UNUSED_PAD src0_sel:WORD_1
	v_cvt_f32_f16_e32 v12, v8
	v_cvt_f32_f16_e32 v10, v9
	v_mul_f32_e32 v2, s24, v2
	v_pk_add_f32 v[8:9], v[2:3], v[12:13] op_sel_hi:[0,1]
	v_pk_add_f32 v[10:11], v[2:3], v[10:11] op_sel_hi:[0,1]
	v_cvt_f16_f32_e32 v2, v11
	v_cvt_f16_f32_e32 v10, v10
	;; [unrolled: 1-line block ×4, first 2 shown]
	v_pack_b32_f16 v9, v10, v2
	v_pack_b32_f16 v8, v8, v11
	global_store_dwordx2 v[4:5], v[8:9], off
	v_add_co_u32_e32 v4, vcc, s6, v4
	v_addc_co_u32_e32 v5, vcc, v5, v6, vcc
	v_add_co_u32_e32 v0, vcc, s7, v0
	v_addc_co_u32_e32 v1, vcc, v1, v7, vcc
	s_andn2_b64 exec, exec, s[2:3]
	s_cbranch_execnz .LBB10_24
.LBB10_25:
	s_endpgm
	.section	.rodata,"a",@progbits
	.p2align	6, 0x0
	.amdhsa_kernel _ZN2at6native12_GLOBAL__N_125multi_tensor_apply_kernelINS1_18TensorListMetadataILi1EEENS1_27BinaryOpScalarTensorFunctorIN3c104HalfELi1ELi1ELi0EEEJSt4plusIfEPS7_fEEEvT_T0_DpT1_
		.amdhsa_group_segment_fixed_size 0
		.amdhsa_private_segment_fixed_size 0
		.amdhsa_kernarg_size 3648
		.amdhsa_user_sgpr_count 6
		.amdhsa_user_sgpr_private_segment_buffer 1
		.amdhsa_user_sgpr_dispatch_ptr 0
		.amdhsa_user_sgpr_queue_ptr 0
		.amdhsa_user_sgpr_kernarg_segment_ptr 1
		.amdhsa_user_sgpr_dispatch_id 0
		.amdhsa_user_sgpr_flat_scratch_init 0
		.amdhsa_user_sgpr_kernarg_preload_length 0
		.amdhsa_user_sgpr_kernarg_preload_offset 0
		.amdhsa_user_sgpr_private_segment_size 0
		.amdhsa_uses_dynamic_stack 0
		.amdhsa_system_sgpr_private_segment_wavefront_offset 0
		.amdhsa_system_sgpr_workgroup_id_x 1
		.amdhsa_system_sgpr_workgroup_id_y 0
		.amdhsa_system_sgpr_workgroup_id_z 0
		.amdhsa_system_sgpr_workgroup_info 0
		.amdhsa_system_vgpr_workitem_id 0
		.amdhsa_next_free_vgpr 22
		.amdhsa_next_free_sgpr 30
		.amdhsa_accum_offset 24
		.amdhsa_reserve_vcc 1
		.amdhsa_reserve_flat_scratch 0
		.amdhsa_float_round_mode_32 0
		.amdhsa_float_round_mode_16_64 0
		.amdhsa_float_denorm_mode_32 3
		.amdhsa_float_denorm_mode_16_64 3
		.amdhsa_dx10_clamp 1
		.amdhsa_ieee_mode 1
		.amdhsa_fp16_overflow 0
		.amdhsa_tg_split 0
		.amdhsa_exception_fp_ieee_invalid_op 0
		.amdhsa_exception_fp_denorm_src 0
		.amdhsa_exception_fp_ieee_div_zero 0
		.amdhsa_exception_fp_ieee_overflow 0
		.amdhsa_exception_fp_ieee_underflow 0
		.amdhsa_exception_fp_ieee_inexact 0
		.amdhsa_exception_int_div_zero 0
	.end_amdhsa_kernel
	.section	.text._ZN2at6native12_GLOBAL__N_125multi_tensor_apply_kernelINS1_18TensorListMetadataILi1EEENS1_27BinaryOpScalarTensorFunctorIN3c104HalfELi1ELi1ELi0EEEJSt4plusIfEPS7_fEEEvT_T0_DpT1_,"axG",@progbits,_ZN2at6native12_GLOBAL__N_125multi_tensor_apply_kernelINS1_18TensorListMetadataILi1EEENS1_27BinaryOpScalarTensorFunctorIN3c104HalfELi1ELi1ELi0EEEJSt4plusIfEPS7_fEEEvT_T0_DpT1_,comdat
.Lfunc_end10:
	.size	_ZN2at6native12_GLOBAL__N_125multi_tensor_apply_kernelINS1_18TensorListMetadataILi1EEENS1_27BinaryOpScalarTensorFunctorIN3c104HalfELi1ELi1ELi0EEEJSt4plusIfEPS7_fEEEvT_T0_DpT1_, .Lfunc_end10-_ZN2at6native12_GLOBAL__N_125multi_tensor_apply_kernelINS1_18TensorListMetadataILi1EEENS1_27BinaryOpScalarTensorFunctorIN3c104HalfELi1ELi1ELi0EEEJSt4plusIfEPS7_fEEEvT_T0_DpT1_
                                        ; -- End function
	.section	.AMDGPU.csdata,"",@progbits
; Kernel info:
; codeLenInByte = 1120
; NumSgprs: 34
; NumVgprs: 22
; NumAgprs: 0
; TotalNumVgprs: 22
; ScratchSize: 0
; MemoryBound: 0
; FloatMode: 240
; IeeeMode: 1
; LDSByteSize: 0 bytes/workgroup (compile time only)
; SGPRBlocks: 4
; VGPRBlocks: 2
; NumSGPRsForWavesPerEU: 34
; NumVGPRsForWavesPerEU: 22
; AccumOffset: 24
; Occupancy: 8
; WaveLimiterHint : 0
; COMPUTE_PGM_RSRC2:SCRATCH_EN: 0
; COMPUTE_PGM_RSRC2:USER_SGPR: 6
; COMPUTE_PGM_RSRC2:TRAP_HANDLER: 0
; COMPUTE_PGM_RSRC2:TGID_X_EN: 1
; COMPUTE_PGM_RSRC2:TGID_Y_EN: 0
; COMPUTE_PGM_RSRC2:TGID_Z_EN: 0
; COMPUTE_PGM_RSRC2:TIDIG_COMP_CNT: 0
; COMPUTE_PGM_RSRC3_GFX90A:ACCUM_OFFSET: 5
; COMPUTE_PGM_RSRC3_GFX90A:TG_SPLIT: 0
	.section	.text._ZN2at6native12_GLOBAL__N_125multi_tensor_apply_kernelINS1_18TensorListMetadataILi1EEENS1_27BinaryOpScalarTensorFunctorIN3c108BFloat16ELi1ELi1ELi0EEEJSt4plusIfEPS7_fEEEvT_T0_DpT1_,"axG",@progbits,_ZN2at6native12_GLOBAL__N_125multi_tensor_apply_kernelINS1_18TensorListMetadataILi1EEENS1_27BinaryOpScalarTensorFunctorIN3c108BFloat16ELi1ELi1ELi0EEEJSt4plusIfEPS7_fEEEvT_T0_DpT1_,comdat
	.globl	_ZN2at6native12_GLOBAL__N_125multi_tensor_apply_kernelINS1_18TensorListMetadataILi1EEENS1_27BinaryOpScalarTensorFunctorIN3c108BFloat16ELi1ELi1ELi0EEEJSt4plusIfEPS7_fEEEvT_T0_DpT1_ ; -- Begin function _ZN2at6native12_GLOBAL__N_125multi_tensor_apply_kernelINS1_18TensorListMetadataILi1EEENS1_27BinaryOpScalarTensorFunctorIN3c108BFloat16ELi1ELi1ELi0EEEJSt4plusIfEPS7_fEEEvT_T0_DpT1_
	.p2align	8
	.type	_ZN2at6native12_GLOBAL__N_125multi_tensor_apply_kernelINS1_18TensorListMetadataILi1EEENS1_27BinaryOpScalarTensorFunctorIN3c108BFloat16ELi1ELi1ELi0EEEJSt4plusIfEPS7_fEEEvT_T0_DpT1_,@function
_ZN2at6native12_GLOBAL__N_125multi_tensor_apply_kernelINS1_18TensorListMetadataILi1EEENS1_27BinaryOpScalarTensorFunctorIN3c108BFloat16ELi1ELi1ELi0EEEJSt4plusIfEPS7_fEEEvT_T0_DpT1_: ; @_ZN2at6native12_GLOBAL__N_125multi_tensor_apply_kernelINS1_18TensorListMetadataILi1EEENS1_27BinaryOpScalarTensorFunctorIN3c108BFloat16ELi1ELi1ELi0EEEJSt4plusIfEPS7_fEEEvT_T0_DpT1_
; %bb.0:
	v_mov_b32_e32 v1, s6
	global_load_ubyte v1, v1, s[4:5] offset:1760
	s_add_u32 s0, s4, s6
	s_mul_hi_u32 s1, s6, 3
	s_mul_i32 s6, s6, 3
	s_addc_u32 s2, s5, 0
	s_add_u32 s0, s0, s6
	s_addc_u32 s1, s2, s1
	s_load_dword s0, s[0:1], 0x820
	s_mov_b32 s7, 0
	s_load_dword s24, s[4:5], 0xd38
	s_waitcnt vmcnt(0)
	v_readfirstlane_b32 s1, v1
	s_lshl_b32 s1, s1, 3
	s_load_dwordx2 s[10:11], s[4:5], 0xd30
	s_load_dwordx2 s[2:3], s[4:5], s1 offset:0x370
	s_load_dwordx2 s[14:15], s[4:5], s1 offset:0x0
	s_waitcnt lgkmcnt(0)
	s_ashr_i32 s1, s0, 31
	s_lshl_b64 s[16:17], s[0:1], 17
	s_lshl_b64 s[0:1], s[0:1], 16
	s_and_b32 s6, s14, 7
	s_sub_u32 s12, s2, s0
	s_subb_u32 s13, s3, s1
	s_and_b32 s0, s2, 3
	s_mov_b32 s1, s7
	s_or_b64 s[0:1], s[6:7], s[0:1]
	s_cmp_eq_u64 s[0:1], 0
	s_cbranch_scc1 .LBB11_21
; %bb.1:
	v_cmp_lt_i64_e64 s[0:1], s[12:13], 1
	s_and_b64 vcc, exec, s[0:1]
	s_cbranch_vccnz .LBB11_20
; %bb.2:
	s_load_dword s0, s[4:5], 0xd4c
	v_mov_b32_e32 v2, 0x10000
	v_mov_b32_e32 v3, 0
	v_cmp_lt_u64_e32 vcc, s[12:13], v[2:3]
	v_lshlrev_b32_e32 v4, 1, v0
	s_waitcnt lgkmcnt(0)
	s_and_b32 s2, s0, 0xffff
	s_and_b64 s[0:1], vcc, exec
	s_cselect_b32 s19, s13, 0
	s_cselect_b32 s18, s12, 0x10000
	s_lshl_b32 s3, s2, 1
	s_lshl_b32 s26, s2, 2
	s_add_u32 s6, s14, s16
	s_addc_u32 s7, s15, s17
	v_mov_b32_e32 v5, s7
	v_add_co_u32_e32 v4, vcc, s6, v4
	s_mul_i32 s0, s2, 3
	v_addc_co_u32_e32 v5, vcc, 0, v5, vcc
	v_add_co_u32_e32 v10, vcc, s0, v0
	v_addc_co_u32_e64 v11, s[0:1], 0, 0, vcc
	v_add_co_u32_e32 v12, vcc, s3, v0
	v_addc_co_u32_e64 v13, s[0:1], 0, 0, vcc
	v_add_co_u32_e32 v14, vcc, s2, v0
	v_lshlrev_b32_e32 v6, 1, v14
	s_mov_b32 s25, 0
	v_addc_co_u32_e64 v15, s[0:1], 0, 0, vcc
	v_mov_b32_e32 v7, s7
	v_add_co_u32_e32 v6, vcc, s6, v6
	v_mov_b32_e32 v1, 0
	s_lshl_b32 s27, s2, 3
	s_mul_i32 s28, s2, 6
	s_mov_b32 s29, s25
	v_addc_co_u32_e32 v7, vcc, 0, v7, vcc
	s_mov_b64 s[20:21], 0
	s_movk_i32 s30, 0x7fff
	v_pk_mov_b32 v[8:9], s[12:13], s[12:13] op_sel:[0,1]
	v_mov_b32_e32 v16, s25
	v_mov_b32_e32 v17, 0x7fc0
	s_branch .LBB11_4
.LBB11_3:                               ;   in Loop: Header=BB11_4 Depth=1
	s_or_b64 exec, exec, s[0:1]
	s_add_u32 s20, s20, s26
	s_addc_u32 s21, s21, 0
	v_cmp_lt_i64_e32 vcc, s[20:21], v[8:9]
	v_cmp_lt_u64_e64 s[0:1], s[20:21], v[2:3]
	s_and_b64 s[0:1], vcc, s[0:1]
	v_add_co_u32_e32 v4, vcc, s27, v4
	v_addc_co_u32_e32 v5, vcc, v5, v16, vcc
	v_add_co_u32_e32 v6, vcc, s27, v6
	v_addc_co_u32_e32 v7, vcc, v7, v16, vcc
	s_and_b64 vcc, exec, s[0:1]
	s_cbranch_vccz .LBB11_20
.LBB11_4:                               ; =>This Inner Loop Header: Depth=1
	v_mov_b32_e32 v19, s21
	v_add_co_u32_e32 v18, vcc, s20, v0
	v_addc_co_u32_e32 v19, vcc, 0, v19, vcc
	v_cmp_gt_u64_e32 vcc, s[18:19], v[18:19]
	v_mov_b32_e32 v19, 0
	s_and_saveexec_b64 s[0:1], vcc
	s_cbranch_execz .LBB11_6
; %bb.5:                                ;   in Loop: Header=BB11_4 Depth=1
	global_load_ushort v19, v[4:5], off
.LBB11_6:                               ;   in Loop: Header=BB11_4 Depth=1
	s_or_b64 exec, exec, s[0:1]
	v_mov_b32_e32 v18, s21
	v_add_co_u32_e64 v20, s[0:1], s20, v14
	v_addc_co_u32_e64 v21, s[0:1], v15, v18, s[0:1]
	v_cmp_gt_u64_e64 s[0:1], s[18:19], v[20:21]
	v_mov_b32_e32 v18, 0
	v_mov_b32_e32 v20, 0
	s_and_saveexec_b64 s[2:3], s[0:1]
	s_cbranch_execz .LBB11_8
; %bb.7:                                ;   in Loop: Header=BB11_4 Depth=1
	global_load_ushort v20, v[6:7], off
.LBB11_8:                               ;   in Loop: Header=BB11_4 Depth=1
	s_or_b64 exec, exec, s[2:3]
	v_mov_b32_e32 v21, s21
	v_add_co_u32_e64 v22, s[2:3], s20, v12
	v_addc_co_u32_e64 v23, s[2:3], v13, v21, s[2:3]
	v_cmp_gt_u64_e64 s[2:3], s[18:19], v[22:23]
	s_and_saveexec_b64 s[8:9], s[2:3]
	s_cbranch_execz .LBB11_10
; %bb.9:                                ;   in Loop: Header=BB11_4 Depth=1
	v_mov_b32_e32 v18, s25
	v_add_co_u32_e64 v22, s[6:7], s26, v4
	v_addc_co_u32_e64 v23, s[6:7], v5, v18, s[6:7]
	global_load_ushort v18, v[22:23], off
.LBB11_10:                              ;   in Loop: Header=BB11_4 Depth=1
	s_or_b64 exec, exec, s[8:9]
	v_mov_b32_e32 v21, s21
	v_add_co_u32_e64 v22, s[6:7], s20, v10
	v_addc_co_u32_e64 v23, s[6:7], v11, v21, s[6:7]
	v_cmp_gt_u64_e64 s[6:7], s[18:19], v[22:23]
	v_mov_b32_e32 v21, 0
	s_and_saveexec_b64 s[22:23], s[6:7]
	s_cbranch_execz .LBB11_12
; %bb.11:                               ;   in Loop: Header=BB11_4 Depth=1
	v_mov_b32_e32 v21, s29
	v_add_co_u32_e64 v22, s[8:9], s28, v4
	v_addc_co_u32_e64 v23, s[8:9], v5, v21, s[8:9]
	global_load_ushort v21, v[22:23], off
.LBB11_12:                              ;   in Loop: Header=BB11_4 Depth=1
	s_or_b64 exec, exec, s[22:23]
	global_load_ushort v22, v1, s[10:11]
	s_waitcnt vmcnt(0)
	v_lshlrev_b32_e32 v22, 16, v22
	v_mul_f32_e32 v22, s24, v22
	s_and_saveexec_b64 s[8:9], vcc
	s_cbranch_execnz .LBB11_16
; %bb.13:                               ;   in Loop: Header=BB11_4 Depth=1
	s_or_b64 exec, exec, s[8:9]
	s_and_saveexec_b64 s[8:9], s[0:1]
	s_cbranch_execnz .LBB11_17
.LBB11_14:                              ;   in Loop: Header=BB11_4 Depth=1
	s_or_b64 exec, exec, s[8:9]
	s_and_saveexec_b64 s[0:1], s[2:3]
	s_cbranch_execnz .LBB11_18
.LBB11_15:                              ;   in Loop: Header=BB11_4 Depth=1
	s_or_b64 exec, exec, s[0:1]
	s_and_saveexec_b64 s[0:1], s[6:7]
	s_cbranch_execz .LBB11_3
	s_branch .LBB11_19
.LBB11_16:                              ;   in Loop: Header=BB11_4 Depth=1
	v_lshlrev_b32_e32 v19, 16, v19
	v_add_f32_e32 v19, v22, v19
	v_bfe_u32 v23, v19, 16, 1
	v_add3_u32 v23, v19, v23, s30
	v_lshrrev_b32_e32 v23, 16, v23
	v_cmp_o_f32_e32 vcc, v19, v19
	v_cndmask_b32_e32 v19, v17, v23, vcc
	global_store_short v[4:5], v19, off
	s_or_b64 exec, exec, s[8:9]
	s_and_saveexec_b64 s[8:9], s[0:1]
	s_cbranch_execz .LBB11_14
.LBB11_17:                              ;   in Loop: Header=BB11_4 Depth=1
	v_lshlrev_b32_e32 v19, 16, v20
	v_add_f32_e32 v19, v22, v19
	v_bfe_u32 v20, v19, 16, 1
	v_add3_u32 v20, v19, v20, s30
	v_lshrrev_b32_e32 v20, 16, v20
	v_cmp_o_f32_e32 vcc, v19, v19
	v_cndmask_b32_e32 v19, v17, v20, vcc
	global_store_short v[6:7], v19, off
	s_or_b64 exec, exec, s[8:9]
	s_and_saveexec_b64 s[0:1], s[2:3]
	s_cbranch_execz .LBB11_15
.LBB11_18:                              ;   in Loop: Header=BB11_4 Depth=1
	v_lshlrev_b32_e32 v18, 16, v18
	v_add_f32_e32 v18, v22, v18
	v_bfe_u32 v19, v18, 16, 1
	v_add3_u32 v19, v18, v19, s30
	v_lshrrev_b32_e32 v19, 16, v19
	v_cmp_o_f32_e32 vcc, v18, v18
	v_cndmask_b32_e32 v20, v17, v19, vcc
	v_mov_b32_e32 v19, s25
	v_add_co_u32_e32 v18, vcc, s26, v4
	v_addc_co_u32_e32 v19, vcc, v5, v19, vcc
	global_store_short v[18:19], v20, off
	s_or_b64 exec, exec, s[0:1]
	s_and_saveexec_b64 s[0:1], s[6:7]
	s_cbranch_execz .LBB11_3
.LBB11_19:                              ;   in Loop: Header=BB11_4 Depth=1
	v_lshlrev_b32_e32 v18, 16, v21
	v_add_f32_e32 v18, v22, v18
	v_bfe_u32 v19, v18, 16, 1
	v_add3_u32 v19, v18, v19, s30
	v_lshrrev_b32_e32 v19, 16, v19
	v_cmp_o_f32_e32 vcc, v18, v18
	v_cndmask_b32_e32 v20, v17, v19, vcc
	v_mov_b32_e32 v19, s29
	v_add_co_u32_e32 v18, vcc, s28, v4
	v_addc_co_u32_e32 v19, vcc, v5, v19, vcc
	global_store_short v[18:19], v20, off
	s_branch .LBB11_3
.LBB11_20:
	s_cbranch_execz .LBB11_22
	s_branch .LBB11_25
.LBB11_21:
.LBB11_22:
	v_mov_b32_e32 v3, 0
	v_lshlrev_b32_e32 v2, 2, v0
	s_mov_b32 s0, 0
	v_cmp_gt_i64_e32 vcc, s[12:13], v[2:3]
	s_and_saveexec_b64 s[2:3], vcc
	s_cbranch_execz .LBB11_25
; %bb.23:
	s_load_dword s1, s[4:5], 0xd4c
	v_lshlrev_b32_e32 v1, 3, v0
	s_movk_i32 s8, 0x7fff
	v_mov_b32_e32 v6, 0x7fc00000
	v_mov_b32_e32 v7, 0x7fc0
	s_waitcnt lgkmcnt(0)
	s_and_b32 s1, s1, 0xffff
	s_add_u32 s2, s14, s16
	s_addc_u32 s3, s15, s17
	v_mov_b32_e32 v2, s3
	v_add_co_u32_e32 v4, vcc, s2, v1
	v_addc_co_u32_e32 v5, vcc, 0, v2, vcc
	v_add_lshl_u32 v2, v0, s1, 2
	s_lshl_b32 s6, s1, 3
	s_lshl_b32 s7, s1, 2
	s_mov_b64 s[2:3], 0
	s_mov_b64 s[4:5], 0xffff
	v_mov_b32_e32 v8, s0
	v_mov_b32_e32 v9, s0
	v_pk_mov_b32 v[0:1], v[2:3], v[2:3] op_sel:[0,1]
.LBB11_24:                              ; =>This Inner Loop Header: Depth=1
	global_load_dwordx2 v[10:11], v[4:5], off
	global_load_ushort v2, v3, s[10:11]
	v_cmp_le_i64_e32 vcc, s[12:13], v[0:1]
	v_cmp_lt_u64_e64 s[0:1], s[4:5], v[0:1]
	s_or_b64 s[0:1], vcc, s[0:1]
	s_and_b64 s[0:1], exec, s[0:1]
	s_or_b64 s[2:3], s[0:1], s[2:3]
	s_waitcnt vmcnt(1)
	v_and_b32_e32 v12, 0xffff0000, v10
	s_waitcnt vmcnt(0)
	v_lshlrev_b32_e32 v2, 16, v2
	v_lshlrev_b32_e32 v13, 16, v10
	v_alignbit_b32 v10, v11, v10, 16
	v_and_b32_e32 v11, 0xffff0000, v11
	v_and_b32_e32 v10, 0xffff0000, v10
	v_fmac_f32_e32 v11, s24, v2
	v_fmac_f32_e32 v13, s24, v2
	v_fmac_f32_e32 v12, s24, v2
	v_fmac_f32_e32 v10, s24, v2
	v_bfe_u32 v2, v11, 16, 1
	v_bfe_u32 v15, v12, 16, 1
	v_add3_u32 v2, v11, v2, s8
	v_bfe_u32 v14, v13, 16, 1
	v_add3_u32 v15, v12, v15, s8
	v_and_b32_e32 v2, 0xffff0000, v2
	v_cmp_o_f32_e32 vcc, v11, v11
	v_add3_u32 v14, v13, v14, s8
	v_bfe_u32 v16, v10, 16, 1
	v_and_b32_e32 v15, 0xffff0000, v15
	v_cndmask_b32_e32 v2, v6, v2, vcc
	v_cmp_o_f32_e32 vcc, v12, v12
	v_lshrrev_b32_e32 v14, 16, v14
	v_add3_u32 v16, v10, v16, s8
	v_cndmask_b32_e32 v11, v6, v15, vcc
	v_cmp_o_f32_e32 vcc, v13, v13
	v_lshrrev_b32_e32 v16, 16, v16
	v_cndmask_b32_e32 v12, v7, v14, vcc
	v_cmp_o_f32_e32 vcc, v10, v10
	v_cndmask_b32_e32 v10, v7, v16, vcc
	v_or_b32_e32 v12, v12, v11
	v_or3_b32 v11, 0, v10, v2
	v_or3_b32 v10, v12, 0, 0
	global_store_dwordx2 v[4:5], v[10:11], off
	v_add_co_u32_e32 v4, vcc, s6, v4
	v_addc_co_u32_e32 v5, vcc, v5, v8, vcc
	v_add_co_u32_e32 v0, vcc, s7, v0
	v_addc_co_u32_e32 v1, vcc, v1, v9, vcc
	s_andn2_b64 exec, exec, s[2:3]
	s_cbranch_execnz .LBB11_24
.LBB11_25:
	s_endpgm
	.section	.rodata,"a",@progbits
	.p2align	6, 0x0
	.amdhsa_kernel _ZN2at6native12_GLOBAL__N_125multi_tensor_apply_kernelINS1_18TensorListMetadataILi1EEENS1_27BinaryOpScalarTensorFunctorIN3c108BFloat16ELi1ELi1ELi0EEEJSt4plusIfEPS7_fEEEvT_T0_DpT1_
		.amdhsa_group_segment_fixed_size 0
		.amdhsa_private_segment_fixed_size 0
		.amdhsa_kernarg_size 3648
		.amdhsa_user_sgpr_count 6
		.amdhsa_user_sgpr_private_segment_buffer 1
		.amdhsa_user_sgpr_dispatch_ptr 0
		.amdhsa_user_sgpr_queue_ptr 0
		.amdhsa_user_sgpr_kernarg_segment_ptr 1
		.amdhsa_user_sgpr_dispatch_id 0
		.amdhsa_user_sgpr_flat_scratch_init 0
		.amdhsa_user_sgpr_kernarg_preload_length 0
		.amdhsa_user_sgpr_kernarg_preload_offset 0
		.amdhsa_user_sgpr_private_segment_size 0
		.amdhsa_uses_dynamic_stack 0
		.amdhsa_system_sgpr_private_segment_wavefront_offset 0
		.amdhsa_system_sgpr_workgroup_id_x 1
		.amdhsa_system_sgpr_workgroup_id_y 0
		.amdhsa_system_sgpr_workgroup_id_z 0
		.amdhsa_system_sgpr_workgroup_info 0
		.amdhsa_system_vgpr_workitem_id 0
		.amdhsa_next_free_vgpr 24
		.amdhsa_next_free_sgpr 31
		.amdhsa_accum_offset 24
		.amdhsa_reserve_vcc 1
		.amdhsa_reserve_flat_scratch 0
		.amdhsa_float_round_mode_32 0
		.amdhsa_float_round_mode_16_64 0
		.amdhsa_float_denorm_mode_32 3
		.amdhsa_float_denorm_mode_16_64 3
		.amdhsa_dx10_clamp 1
		.amdhsa_ieee_mode 1
		.amdhsa_fp16_overflow 0
		.amdhsa_tg_split 0
		.amdhsa_exception_fp_ieee_invalid_op 0
		.amdhsa_exception_fp_denorm_src 0
		.amdhsa_exception_fp_ieee_div_zero 0
		.amdhsa_exception_fp_ieee_overflow 0
		.amdhsa_exception_fp_ieee_underflow 0
		.amdhsa_exception_fp_ieee_inexact 0
		.amdhsa_exception_int_div_zero 0
	.end_amdhsa_kernel
	.section	.text._ZN2at6native12_GLOBAL__N_125multi_tensor_apply_kernelINS1_18TensorListMetadataILi1EEENS1_27BinaryOpScalarTensorFunctorIN3c108BFloat16ELi1ELi1ELi0EEEJSt4plusIfEPS7_fEEEvT_T0_DpT1_,"axG",@progbits,_ZN2at6native12_GLOBAL__N_125multi_tensor_apply_kernelINS1_18TensorListMetadataILi1EEENS1_27BinaryOpScalarTensorFunctorIN3c108BFloat16ELi1ELi1ELi0EEEJSt4plusIfEPS7_fEEEvT_T0_DpT1_,comdat
.Lfunc_end11:
	.size	_ZN2at6native12_GLOBAL__N_125multi_tensor_apply_kernelINS1_18TensorListMetadataILi1EEENS1_27BinaryOpScalarTensorFunctorIN3c108BFloat16ELi1ELi1ELi0EEEJSt4plusIfEPS7_fEEEvT_T0_DpT1_, .Lfunc_end11-_ZN2at6native12_GLOBAL__N_125multi_tensor_apply_kernelINS1_18TensorListMetadataILi1EEENS1_27BinaryOpScalarTensorFunctorIN3c108BFloat16ELi1ELi1ELi0EEEJSt4plusIfEPS7_fEEEvT_T0_DpT1_
                                        ; -- End function
	.section	.AMDGPU.csdata,"",@progbits
; Kernel info:
; codeLenInByte = 1364
; NumSgprs: 35
; NumVgprs: 24
; NumAgprs: 0
; TotalNumVgprs: 24
; ScratchSize: 0
; MemoryBound: 0
; FloatMode: 240
; IeeeMode: 1
; LDSByteSize: 0 bytes/workgroup (compile time only)
; SGPRBlocks: 4
; VGPRBlocks: 2
; NumSGPRsForWavesPerEU: 35
; NumVGPRsForWavesPerEU: 24
; AccumOffset: 24
; Occupancy: 8
; WaveLimiterHint : 0
; COMPUTE_PGM_RSRC2:SCRATCH_EN: 0
; COMPUTE_PGM_RSRC2:USER_SGPR: 6
; COMPUTE_PGM_RSRC2:TRAP_HANDLER: 0
; COMPUTE_PGM_RSRC2:TGID_X_EN: 1
; COMPUTE_PGM_RSRC2:TGID_Y_EN: 0
; COMPUTE_PGM_RSRC2:TGID_Z_EN: 0
; COMPUTE_PGM_RSRC2:TIDIG_COMP_CNT: 0
; COMPUTE_PGM_RSRC3_GFX90A:ACCUM_OFFSET: 5
; COMPUTE_PGM_RSRC3_GFX90A:TG_SPLIT: 0
	.section	.text._ZN2at6native12_GLOBAL__N_125multi_tensor_apply_kernelINS1_18TensorListMetadataILi2EEENS1_27BinaryOpScalarTensorFunctorIhLi2ELi1ELi1EEEJSt4plusIhEPhhEEEvT_T0_DpT1_,"axG",@progbits,_ZN2at6native12_GLOBAL__N_125multi_tensor_apply_kernelINS1_18TensorListMetadataILi2EEENS1_27BinaryOpScalarTensorFunctorIhLi2ELi1ELi1EEEJSt4plusIhEPhhEEEvT_T0_DpT1_,comdat
	.globl	_ZN2at6native12_GLOBAL__N_125multi_tensor_apply_kernelINS1_18TensorListMetadataILi2EEENS1_27BinaryOpScalarTensorFunctorIhLi2ELi1ELi1EEEJSt4plusIhEPhhEEEvT_T0_DpT1_ ; -- Begin function _ZN2at6native12_GLOBAL__N_125multi_tensor_apply_kernelINS1_18TensorListMetadataILi2EEENS1_27BinaryOpScalarTensorFunctorIhLi2ELi1ELi1EEEJSt4plusIhEPhhEEEvT_T0_DpT1_
	.p2align	8
	.type	_ZN2at6native12_GLOBAL__N_125multi_tensor_apply_kernelINS1_18TensorListMetadataILi2EEENS1_27BinaryOpScalarTensorFunctorIhLi2ELi1ELi1EEEJSt4plusIhEPhhEEEvT_T0_DpT1_,@function
_ZN2at6native12_GLOBAL__N_125multi_tensor_apply_kernelINS1_18TensorListMetadataILi2EEENS1_27BinaryOpScalarTensorFunctorIhLi2ELi1ELi1EEEJSt4plusIhEPhhEEEvT_T0_DpT1_: ; @_ZN2at6native12_GLOBAL__N_125multi_tensor_apply_kernelINS1_18TensorListMetadataILi2EEENS1_27BinaryOpScalarTensorFunctorIhLi2ELi1ELi1EEEJSt4plusIhEPhhEEEvT_T0_DpT1_
; %bb.0:
	v_mov_b32_e32 v1, s6
	global_load_ubyte v1, v1, s[4:5] offset:1536
	s_add_u32 s0, s4, s6
	s_mul_hi_u32 s1, s6, 3
	s_mul_i32 s6, s6, 3
	s_addc_u32 s2, s5, 0
	s_add_u32 s0, s0, s6
	s_addc_u32 s1, s2, s1
	s_load_dword s0, s[0:1], 0x740
	s_waitcnt vmcnt(0)
	v_readfirstlane_b32 s1, v1
	s_load_dword s22, s[4:5], 0xc58
	s_lshl_b32 s1, s1, 3
	s_load_dwordx2 s[2:3], s[4:5], s1 offset:0x0
	s_load_dwordx2 s[8:9], s[4:5], 0xc50
	s_load_dwordx2 s[14:15], s[4:5], s1 offset:0x400
	s_load_dwordx2 s[6:7], s[4:5], s1 offset:0x200
	s_waitcnt lgkmcnt(0)
	s_ashr_i32 s1, s0, 31
	s_lshl_b64 s[12:13], s[0:1], 16
	s_add_u32 s10, s2, s12
	s_addc_u32 s11, s3, s13
	s_add_u32 s23, s6, s12
	s_addc_u32 s20, s7, s13
	s_or_b64 s[0:1], s[14:15], s[10:11]
	s_or_b32 s0, s23, s0
	s_and_b32 s0, s0, 3
	s_sub_u32 s14, s14, s12
	s_subb_u32 s15, s15, s13
	s_cmp_eq_u32 s0, 0
	s_mov_b64 s[0:1], -1
	s_cbranch_scc0 .LBB12_5
; %bb.1:
	v_lshlrev_b32_e32 v2, 2, v0
	v_mov_b32_e32 v3, 0
	v_cmp_gt_i64_e32 vcc, s[14:15], v[2:3]
	s_and_saveexec_b64 s[16:17], vcc
	s_cbranch_execz .LBB12_4
; %bb.2:
	s_load_dword s0, s[4:5], 0xc6c
	s_mov_b32 s1, 0
	s_and_b32 s24, s22, 0xff
	s_mov_b64 s[18:19], 0
	v_mov_b32_e32 v1, s11
	s_waitcnt lgkmcnt(0)
	s_and_b32 s0, s0, 0xffff
	s_lshl_b32 s11, s0, 2
	v_mov_b32_e32 v6, s20
	v_mov_b32_e32 v7, s1
	s_mov_b64 s[20:21], 0xffff
	v_mov_b32_e32 v8, 8
	v_pk_mov_b32 v[4:5], v[2:3], v[2:3] op_sel:[0,1]
.LBB12_3:                               ; =>This Inner Loop Header: Depth=1
	v_add_co_u32_e32 v10, vcc, s10, v4
	v_addc_co_u32_e32 v11, vcc, v1, v5, vcc
	global_load_ubyte v2, v3, s[8:9]
	global_load_dword v9, v[10:11], off
	v_add_co_u32_e32 v10, vcc, s23, v4
	v_addc_co_u32_e32 v11, vcc, v6, v5, vcc
	v_add_co_u32_e32 v4, vcc, s11, v4
	v_addc_co_u32_e32 v5, vcc, v7, v5, vcc
	v_cmp_le_i64_e32 vcc, s[14:15], v[4:5]
	v_cmp_lt_u64_e64 s[0:1], s[20:21], v[4:5]
	s_or_b64 s[0:1], vcc, s[0:1]
	s_and_b64 s[0:1], exec, s[0:1]
	s_or_b64 s[18:19], s[0:1], s[18:19]
	s_waitcnt vmcnt(1)
	v_mul_lo_u32 v2, v2, s24
	s_waitcnt vmcnt(0)
	v_lshrrev_b32_e32 v12, 8, v9
	v_add_u16_sdwa v14, v2, v9 dst_sel:DWORD dst_unused:UNUSED_PAD src0_sel:DWORD src1_sel:WORD_1
	v_add_u16_e32 v13, v2, v9
	v_add_u16_sdwa v9, v2, v9 dst_sel:DWORD dst_unused:UNUSED_PAD src0_sel:DWORD src1_sel:BYTE_3
	v_add_u16_e32 v2, v2, v12
	v_and_b32_e32 v12, 0xff, v14
	v_lshlrev_b32_e32 v12, 16, v12
	v_and_b32_e32 v13, 0xff, v13
	v_lshlrev_b32_sdwa v2, v8, v2 dst_sel:DWORD dst_unused:UNUSED_PAD src0_sel:DWORD src1_sel:BYTE_0
	v_lshl_or_b32 v9, v9, 24, v12
	v_or3_b32 v2, v9, v2, v13
	global_store_dword v[10:11], v2, off
	s_andn2_b64 exec, exec, s[18:19]
	s_cbranch_execnz .LBB12_3
.LBB12_4:
	s_or_b64 exec, exec, s[16:17]
	s_mov_b64 s[0:1], 0
.LBB12_5:
	s_andn2_b64 vcc, exec, s[0:1]
	s_cbranch_vccnz .LBB12_25
; %bb.6:
	v_cmp_lt_i64_e64 s[0:1], s[14:15], 1
	s_and_b64 vcc, exec, s[0:1]
	s_cbranch_vccnz .LBB12_25
; %bb.7:
	s_load_dword s0, s[4:5], 0xc6c
	v_mov_b32_e32 v2, 0x10000
	v_mov_b32_e32 v3, 0
	v_cmp_lt_u64_e32 vcc, s[14:15], v[2:3]
	v_mov_b32_e32 v2, s13
	s_waitcnt lgkmcnt(0)
	s_and_b32 s4, s0, 0xffff
	s_and_b64 s[0:1], vcc, exec
	v_add_co_u32_e32 v3, vcc, s12, v0
	v_addc_co_u32_e32 v2, vcc, 0, v2, vcc
	v_mov_b32_e32 v21, s3
	v_add_co_u32_e32 v4, vcc, s2, v3
	s_cselect_b32 s11, s15, 0
	s_cselect_b32 s10, s14, 0x10000
	s_lshl_b32 s5, s4, 1
	s_mul_i32 s0, s4, 3
	s_lshl_b32 s16, s4, 2
	s_and_b32 s17, s22, 0xff
	v_addc_co_u32_e32 v5, vcc, v21, v2, vcc
	v_mov_b32_e32 v23, s7
	v_add_co_u32_e32 v6, vcc, s6, v3
	s_add_u32 s1, s12, s0
	v_addc_co_u32_e32 v7, vcc, v23, v2, vcc
	s_addc_u32 s3, s13, 0
	v_mov_b32_e32 v8, s3
	v_add_co_u32_e32 v10, vcc, s1, v0
	v_addc_co_u32_e32 v11, vcc, 0, v8, vcc
	v_add_co_u32_e32 v8, vcc, s2, v10
	v_addc_co_u32_e32 v9, vcc, v21, v11, vcc
	;; [unrolled: 2-line block ×3, first 2 shown]
	v_add_co_u32_e32 v12, vcc, s0, v0
	v_addc_co_u32_e64 v13, s[0:1], 0, 0, vcc
	s_add_u32 s0, s12, s5
	s_addc_u32 s1, s13, 0
	v_mov_b32_e32 v14, s1
	v_add_co_u32_e32 v16, vcc, s0, v0
	v_addc_co_u32_e32 v17, vcc, 0, v14, vcc
	v_add_co_u32_e32 v14, vcc, s2, v16
	v_addc_co_u32_e32 v15, vcc, v21, v17, vcc
	;; [unrolled: 2-line block ×3, first 2 shown]
	v_add_co_u32_e32 v18, vcc, s5, v0
	v_addc_co_u32_e64 v19, s[0:1], 0, 0, vcc
	v_add_co_u32_e32 v3, vcc, s4, v3
	v_addc_co_u32_e32 v2, vcc, 0, v2, vcc
	v_add_co_u32_e32 v20, vcc, s2, v3
	v_addc_co_u32_e32 v21, vcc, v21, v2, vcc
	;; [unrolled: 2-line block ×3, first 2 shown]
	v_add_co_u32_e32 v24, vcc, s4, v0
	v_mov_b32_e32 v1, 0
	v_addc_co_u32_e64 v25, s[0:1], 0, 0, vcc
	s_mov_b64 s[12:13], 0
	v_pk_mov_b32 v[2:3], s[14:15], s[14:15] op_sel:[0,1]
	s_branch .LBB12_9
.LBB12_8:                               ;   in Loop: Header=BB12_9 Depth=1
	s_or_b64 exec, exec, s[0:1]
	s_add_u32 s12, s12, s16
	v_mov_b32_e32 v26, 0xffff
	s_addc_u32 s13, s13, 0
	v_mov_b32_e32 v27, 0
	v_cmp_ge_i64_e32 vcc, s[12:13], v[2:3]
	v_cmp_gt_u64_e64 s[0:1], s[12:13], v[26:27]
	s_or_b64 s[0:1], vcc, s[0:1]
	s_and_b64 vcc, exec, s[0:1]
	s_cbranch_vccnz .LBB12_25
.LBB12_9:                               ; =>This Inner Loop Header: Depth=1
	v_mov_b32_e32 v27, s13
	v_add_co_u32_e32 v26, vcc, s12, v0
	v_addc_co_u32_e32 v27, vcc, 0, v27, vcc
	v_cmp_gt_u64_e32 vcc, s[10:11], v[26:27]
	v_mov_b32_e32 v27, 0
	s_and_saveexec_b64 s[2:3], vcc
	s_cbranch_execz .LBB12_11
; %bb.10:                               ;   in Loop: Header=BB12_9 Depth=1
	v_mov_b32_e32 v27, s13
	v_add_co_u32_e64 v26, s[0:1], s12, v4
	v_addc_co_u32_e64 v27, s[0:1], v5, v27, s[0:1]
	global_load_ubyte v27, v[26:27], off
.LBB12_11:                              ;   in Loop: Header=BB12_9 Depth=1
	s_or_b64 exec, exec, s[2:3]
	v_mov_b32_e32 v26, s13
	v_add_co_u32_e64 v28, s[0:1], s12, v24
	v_addc_co_u32_e64 v29, s[0:1], v25, v26, s[0:1]
	v_cmp_gt_u64_e64 s[0:1], s[10:11], v[28:29]
	v_mov_b32_e32 v26, 0
	v_mov_b32_e32 v28, 0
	s_and_saveexec_b64 s[4:5], s[0:1]
	s_cbranch_execz .LBB12_13
; %bb.12:                               ;   in Loop: Header=BB12_9 Depth=1
	v_mov_b32_e32 v29, s13
	v_add_co_u32_e64 v28, s[2:3], s12, v20
	v_addc_co_u32_e64 v29, s[2:3], v21, v29, s[2:3]
	global_load_ubyte v28, v[28:29], off
.LBB12_13:                              ;   in Loop: Header=BB12_9 Depth=1
	s_or_b64 exec, exec, s[4:5]
	v_mov_b32_e32 v29, s13
	v_add_co_u32_e64 v30, s[2:3], s12, v18
	v_addc_co_u32_e64 v31, s[2:3], v19, v29, s[2:3]
	v_cmp_gt_u64_e64 s[2:3], s[10:11], v[30:31]
	s_and_saveexec_b64 s[6:7], s[2:3]
	s_cbranch_execz .LBB12_15
; %bb.14:                               ;   in Loop: Header=BB12_9 Depth=1
	v_mov_b32_e32 v26, s13
	v_add_co_u32_e64 v30, s[4:5], s12, v14
	v_addc_co_u32_e64 v31, s[4:5], v15, v26, s[4:5]
	global_load_ubyte v26, v[30:31], off
.LBB12_15:                              ;   in Loop: Header=BB12_9 Depth=1
	s_or_b64 exec, exec, s[6:7]
	v_mov_b32_e32 v29, s13
	v_add_co_u32_e64 v30, s[4:5], s12, v12
	v_addc_co_u32_e64 v31, s[4:5], v13, v29, s[4:5]
	v_cmp_gt_u64_e64 s[4:5], s[10:11], v[30:31]
	v_mov_b32_e32 v29, 0
	s_and_saveexec_b64 s[14:15], s[4:5]
	s_cbranch_execz .LBB12_17
; %bb.16:                               ;   in Loop: Header=BB12_9 Depth=1
	v_mov_b32_e32 v29, s13
	v_add_co_u32_e64 v30, s[6:7], s12, v8
	v_addc_co_u32_e64 v31, s[6:7], v9, v29, s[6:7]
	global_load_ubyte v29, v[30:31], off
.LBB12_17:                              ;   in Loop: Header=BB12_9 Depth=1
	s_or_b64 exec, exec, s[14:15]
	global_load_ubyte v30, v1, s[8:9]
	s_waitcnt vmcnt(0)
	v_mul_lo_u32 v30, v30, s17
	s_and_saveexec_b64 s[6:7], vcc
	s_cbranch_execnz .LBB12_21
; %bb.18:                               ;   in Loop: Header=BB12_9 Depth=1
	s_or_b64 exec, exec, s[6:7]
	s_and_saveexec_b64 s[6:7], s[0:1]
	s_cbranch_execnz .LBB12_22
.LBB12_19:                              ;   in Loop: Header=BB12_9 Depth=1
	s_or_b64 exec, exec, s[6:7]
	s_and_saveexec_b64 s[0:1], s[2:3]
	s_cbranch_execnz .LBB12_23
.LBB12_20:                              ;   in Loop: Header=BB12_9 Depth=1
	s_or_b64 exec, exec, s[0:1]
	s_and_saveexec_b64 s[0:1], s[4:5]
	s_cbranch_execz .LBB12_8
	s_branch .LBB12_24
.LBB12_21:                              ;   in Loop: Header=BB12_9 Depth=1
	v_mov_b32_e32 v31, s13
	v_add_co_u32_e32 v32, vcc, s12, v6
	v_addc_co_u32_e32 v33, vcc, v7, v31, vcc
	v_add_u16_e32 v27, v30, v27
	global_store_byte v[32:33], v27, off
	s_or_b64 exec, exec, s[6:7]
	s_and_saveexec_b64 s[6:7], s[0:1]
	s_cbranch_execz .LBB12_19
.LBB12_22:                              ;   in Loop: Header=BB12_9 Depth=1
	v_add_u16_e32 v27, v30, v28
	v_mov_b32_e32 v28, s13
	v_add_co_u32_e32 v32, vcc, s12, v22
	v_addc_co_u32_e32 v33, vcc, v23, v28, vcc
	global_store_byte v[32:33], v27, off
	s_or_b64 exec, exec, s[6:7]
	s_and_saveexec_b64 s[0:1], s[2:3]
	s_cbranch_execz .LBB12_20
.LBB12_23:                              ;   in Loop: Header=BB12_9 Depth=1
	v_add_u16_e32 v28, v30, v26
	v_mov_b32_e32 v27, s13
	v_add_co_u32_e32 v26, vcc, s12, v16
	v_addc_co_u32_e32 v27, vcc, v17, v27, vcc
	global_store_byte v[26:27], v28, off
	s_or_b64 exec, exec, s[0:1]
	s_and_saveexec_b64 s[0:1], s[4:5]
	s_cbranch_execz .LBB12_8
.LBB12_24:                              ;   in Loop: Header=BB12_9 Depth=1
	v_mov_b32_e32 v27, s13
	v_add_co_u32_e32 v26, vcc, s12, v10
	v_add_u16_e32 v28, v30, v29
	v_addc_co_u32_e32 v27, vcc, v11, v27, vcc
	global_store_byte v[26:27], v28, off
	s_branch .LBB12_8
.LBB12_25:
	s_endpgm
	.section	.rodata,"a",@progbits
	.p2align	6, 0x0
	.amdhsa_kernel _ZN2at6native12_GLOBAL__N_125multi_tensor_apply_kernelINS1_18TensorListMetadataILi2EEENS1_27BinaryOpScalarTensorFunctorIhLi2ELi1ELi1EEEJSt4plusIhEPhhEEEvT_T0_DpT1_
		.amdhsa_group_segment_fixed_size 0
		.amdhsa_private_segment_fixed_size 0
		.amdhsa_kernarg_size 3424
		.amdhsa_user_sgpr_count 6
		.amdhsa_user_sgpr_private_segment_buffer 1
		.amdhsa_user_sgpr_dispatch_ptr 0
		.amdhsa_user_sgpr_queue_ptr 0
		.amdhsa_user_sgpr_kernarg_segment_ptr 1
		.amdhsa_user_sgpr_dispatch_id 0
		.amdhsa_user_sgpr_flat_scratch_init 0
		.amdhsa_user_sgpr_kernarg_preload_length 0
		.amdhsa_user_sgpr_kernarg_preload_offset 0
		.amdhsa_user_sgpr_private_segment_size 0
		.amdhsa_uses_dynamic_stack 0
		.amdhsa_system_sgpr_private_segment_wavefront_offset 0
		.amdhsa_system_sgpr_workgroup_id_x 1
		.amdhsa_system_sgpr_workgroup_id_y 0
		.amdhsa_system_sgpr_workgroup_id_z 0
		.amdhsa_system_sgpr_workgroup_info 0
		.amdhsa_system_vgpr_workitem_id 0
		.amdhsa_next_free_vgpr 34
		.amdhsa_next_free_sgpr 25
		.amdhsa_accum_offset 36
		.amdhsa_reserve_vcc 1
		.amdhsa_reserve_flat_scratch 0
		.amdhsa_float_round_mode_32 0
		.amdhsa_float_round_mode_16_64 0
		.amdhsa_float_denorm_mode_32 3
		.amdhsa_float_denorm_mode_16_64 3
		.amdhsa_dx10_clamp 1
		.amdhsa_ieee_mode 1
		.amdhsa_fp16_overflow 0
		.amdhsa_tg_split 0
		.amdhsa_exception_fp_ieee_invalid_op 0
		.amdhsa_exception_fp_denorm_src 0
		.amdhsa_exception_fp_ieee_div_zero 0
		.amdhsa_exception_fp_ieee_overflow 0
		.amdhsa_exception_fp_ieee_underflow 0
		.amdhsa_exception_fp_ieee_inexact 0
		.amdhsa_exception_int_div_zero 0
	.end_amdhsa_kernel
	.section	.text._ZN2at6native12_GLOBAL__N_125multi_tensor_apply_kernelINS1_18TensorListMetadataILi2EEENS1_27BinaryOpScalarTensorFunctorIhLi2ELi1ELi1EEEJSt4plusIhEPhhEEEvT_T0_DpT1_,"axG",@progbits,_ZN2at6native12_GLOBAL__N_125multi_tensor_apply_kernelINS1_18TensorListMetadataILi2EEENS1_27BinaryOpScalarTensorFunctorIhLi2ELi1ELi1EEEJSt4plusIhEPhhEEEvT_T0_DpT1_,comdat
.Lfunc_end12:
	.size	_ZN2at6native12_GLOBAL__N_125multi_tensor_apply_kernelINS1_18TensorListMetadataILi2EEENS1_27BinaryOpScalarTensorFunctorIhLi2ELi1ELi1EEEJSt4plusIhEPhhEEEvT_T0_DpT1_, .Lfunc_end12-_ZN2at6native12_GLOBAL__N_125multi_tensor_apply_kernelINS1_18TensorListMetadataILi2EEENS1_27BinaryOpScalarTensorFunctorIhLi2ELi1ELi1EEEJSt4plusIhEPhhEEEvT_T0_DpT1_
                                        ; -- End function
	.section	.AMDGPU.csdata,"",@progbits
; Kernel info:
; codeLenInByte = 1240
; NumSgprs: 29
; NumVgprs: 34
; NumAgprs: 0
; TotalNumVgprs: 34
; ScratchSize: 0
; MemoryBound: 0
; FloatMode: 240
; IeeeMode: 1
; LDSByteSize: 0 bytes/workgroup (compile time only)
; SGPRBlocks: 3
; VGPRBlocks: 4
; NumSGPRsForWavesPerEU: 29
; NumVGPRsForWavesPerEU: 34
; AccumOffset: 36
; Occupancy: 8
; WaveLimiterHint : 0
; COMPUTE_PGM_RSRC2:SCRATCH_EN: 0
; COMPUTE_PGM_RSRC2:USER_SGPR: 6
; COMPUTE_PGM_RSRC2:TRAP_HANDLER: 0
; COMPUTE_PGM_RSRC2:TGID_X_EN: 1
; COMPUTE_PGM_RSRC2:TGID_Y_EN: 0
; COMPUTE_PGM_RSRC2:TGID_Z_EN: 0
; COMPUTE_PGM_RSRC2:TIDIG_COMP_CNT: 0
; COMPUTE_PGM_RSRC3_GFX90A:ACCUM_OFFSET: 8
; COMPUTE_PGM_RSRC3_GFX90A:TG_SPLIT: 0
	.section	.text._ZN2at6native12_GLOBAL__N_125multi_tensor_apply_kernelINS1_18TensorListMetadataILi2EEENS1_27BinaryOpScalarTensorFunctorIaLi2ELi1ELi1EEEJSt4plusIaEPaaEEEvT_T0_DpT1_,"axG",@progbits,_ZN2at6native12_GLOBAL__N_125multi_tensor_apply_kernelINS1_18TensorListMetadataILi2EEENS1_27BinaryOpScalarTensorFunctorIaLi2ELi1ELi1EEEJSt4plusIaEPaaEEEvT_T0_DpT1_,comdat
	.globl	_ZN2at6native12_GLOBAL__N_125multi_tensor_apply_kernelINS1_18TensorListMetadataILi2EEENS1_27BinaryOpScalarTensorFunctorIaLi2ELi1ELi1EEEJSt4plusIaEPaaEEEvT_T0_DpT1_ ; -- Begin function _ZN2at6native12_GLOBAL__N_125multi_tensor_apply_kernelINS1_18TensorListMetadataILi2EEENS1_27BinaryOpScalarTensorFunctorIaLi2ELi1ELi1EEEJSt4plusIaEPaaEEEvT_T0_DpT1_
	.p2align	8
	.type	_ZN2at6native12_GLOBAL__N_125multi_tensor_apply_kernelINS1_18TensorListMetadataILi2EEENS1_27BinaryOpScalarTensorFunctorIaLi2ELi1ELi1EEEJSt4plusIaEPaaEEEvT_T0_DpT1_,@function
_ZN2at6native12_GLOBAL__N_125multi_tensor_apply_kernelINS1_18TensorListMetadataILi2EEENS1_27BinaryOpScalarTensorFunctorIaLi2ELi1ELi1EEEJSt4plusIaEPaaEEEvT_T0_DpT1_: ; @_ZN2at6native12_GLOBAL__N_125multi_tensor_apply_kernelINS1_18TensorListMetadataILi2EEENS1_27BinaryOpScalarTensorFunctorIaLi2ELi1ELi1EEEJSt4plusIaEPaaEEEvT_T0_DpT1_
; %bb.0:
	v_mov_b32_e32 v1, s6
	global_load_ubyte v1, v1, s[4:5] offset:1536
	s_add_u32 s0, s4, s6
	s_mul_hi_u32 s1, s6, 3
	s_mul_i32 s6, s6, 3
	s_addc_u32 s2, s5, 0
	s_add_u32 s0, s0, s6
	s_addc_u32 s1, s2, s1
	s_load_dword s0, s[0:1], 0x740
	s_waitcnt vmcnt(0)
	v_readfirstlane_b32 s1, v1
	s_load_dword s22, s[4:5], 0xc58
	s_lshl_b32 s1, s1, 3
	s_load_dwordx2 s[2:3], s[4:5], s1 offset:0x0
	s_load_dwordx2 s[8:9], s[4:5], 0xc50
	s_load_dwordx2 s[14:15], s[4:5], s1 offset:0x400
	s_load_dwordx2 s[6:7], s[4:5], s1 offset:0x200
	s_waitcnt lgkmcnt(0)
	s_ashr_i32 s1, s0, 31
	s_lshl_b64 s[12:13], s[0:1], 16
	s_add_u32 s10, s2, s12
	s_addc_u32 s11, s3, s13
	s_add_u32 s23, s6, s12
	s_addc_u32 s20, s7, s13
	s_or_b64 s[0:1], s[14:15], s[10:11]
	s_or_b32 s0, s23, s0
	s_and_b32 s0, s0, 3
	s_sub_u32 s14, s14, s12
	s_subb_u32 s15, s15, s13
	s_cmp_eq_u32 s0, 0
	s_mov_b64 s[0:1], -1
	s_cbranch_scc0 .LBB13_5
; %bb.1:
	v_lshlrev_b32_e32 v2, 2, v0
	v_mov_b32_e32 v3, 0
	v_cmp_gt_i64_e32 vcc, s[14:15], v[2:3]
	s_and_saveexec_b64 s[16:17], vcc
	s_cbranch_execz .LBB13_4
; %bb.2:
	s_load_dword s0, s[4:5], 0xc6c
	s_mov_b32 s1, 0
	s_and_b32 s24, s22, 0xff
	s_mov_b64 s[18:19], 0
	v_mov_b32_e32 v1, s11
	s_waitcnt lgkmcnt(0)
	s_and_b32 s0, s0, 0xffff
	s_lshl_b32 s11, s0, 2
	v_mov_b32_e32 v6, s20
	v_mov_b32_e32 v7, s1
	s_mov_b64 s[20:21], 0xffff
	v_mov_b32_e32 v8, 8
	v_pk_mov_b32 v[4:5], v[2:3], v[2:3] op_sel:[0,1]
.LBB13_3:                               ; =>This Inner Loop Header: Depth=1
	v_add_co_u32_e32 v10, vcc, s10, v4
	v_addc_co_u32_e32 v11, vcc, v1, v5, vcc
	global_load_ubyte v2, v3, s[8:9]
	global_load_dword v9, v[10:11], off
	v_add_co_u32_e32 v10, vcc, s23, v4
	v_addc_co_u32_e32 v11, vcc, v6, v5, vcc
	v_add_co_u32_e32 v4, vcc, s11, v4
	v_addc_co_u32_e32 v5, vcc, v7, v5, vcc
	v_cmp_le_i64_e32 vcc, s[14:15], v[4:5]
	v_cmp_lt_u64_e64 s[0:1], s[20:21], v[4:5]
	s_or_b64 s[0:1], vcc, s[0:1]
	s_and_b64 s[0:1], exec, s[0:1]
	s_or_b64 s[18:19], s[0:1], s[18:19]
	s_waitcnt vmcnt(1)
	v_mul_lo_u32 v2, v2, s24
	s_waitcnt vmcnt(0)
	v_lshrrev_b32_e32 v12, 8, v9
	v_add_u16_sdwa v14, v2, v9 dst_sel:DWORD dst_unused:UNUSED_PAD src0_sel:DWORD src1_sel:WORD_1
	v_add_u16_e32 v13, v2, v9
	v_add_u16_sdwa v9, v2, v9 dst_sel:DWORD dst_unused:UNUSED_PAD src0_sel:DWORD src1_sel:BYTE_3
	v_add_u16_e32 v2, v2, v12
	v_and_b32_e32 v12, 0xff, v14
	v_lshlrev_b32_e32 v12, 16, v12
	v_and_b32_e32 v13, 0xff, v13
	v_lshlrev_b32_sdwa v2, v8, v2 dst_sel:DWORD dst_unused:UNUSED_PAD src0_sel:DWORD src1_sel:BYTE_0
	v_lshl_or_b32 v9, v9, 24, v12
	v_or3_b32 v2, v9, v2, v13
	global_store_dword v[10:11], v2, off
	s_andn2_b64 exec, exec, s[18:19]
	s_cbranch_execnz .LBB13_3
.LBB13_4:
	s_or_b64 exec, exec, s[16:17]
	s_mov_b64 s[0:1], 0
.LBB13_5:
	s_andn2_b64 vcc, exec, s[0:1]
	s_cbranch_vccnz .LBB13_25
; %bb.6:
	v_cmp_lt_i64_e64 s[0:1], s[14:15], 1
	s_and_b64 vcc, exec, s[0:1]
	s_cbranch_vccnz .LBB13_25
; %bb.7:
	s_load_dword s0, s[4:5], 0xc6c
	v_mov_b32_e32 v2, 0x10000
	v_mov_b32_e32 v3, 0
	v_cmp_lt_u64_e32 vcc, s[14:15], v[2:3]
	v_mov_b32_e32 v2, s13
	s_waitcnt lgkmcnt(0)
	s_and_b32 s4, s0, 0xffff
	s_and_b64 s[0:1], vcc, exec
	v_add_co_u32_e32 v3, vcc, s12, v0
	v_addc_co_u32_e32 v2, vcc, 0, v2, vcc
	v_mov_b32_e32 v21, s3
	v_add_co_u32_e32 v4, vcc, s2, v3
	s_cselect_b32 s11, s15, 0
	s_cselect_b32 s10, s14, 0x10000
	s_lshl_b32 s5, s4, 1
	s_mul_i32 s0, s4, 3
	s_lshl_b32 s16, s4, 2
	s_and_b32 s17, s22, 0xff
	v_addc_co_u32_e32 v5, vcc, v21, v2, vcc
	v_mov_b32_e32 v23, s7
	v_add_co_u32_e32 v6, vcc, s6, v3
	s_add_u32 s1, s12, s0
	v_addc_co_u32_e32 v7, vcc, v23, v2, vcc
	s_addc_u32 s3, s13, 0
	v_mov_b32_e32 v8, s3
	v_add_co_u32_e32 v10, vcc, s1, v0
	v_addc_co_u32_e32 v11, vcc, 0, v8, vcc
	v_add_co_u32_e32 v8, vcc, s2, v10
	v_addc_co_u32_e32 v9, vcc, v21, v11, vcc
	;; [unrolled: 2-line block ×3, first 2 shown]
	v_add_co_u32_e32 v12, vcc, s0, v0
	v_addc_co_u32_e64 v13, s[0:1], 0, 0, vcc
	s_add_u32 s0, s12, s5
	s_addc_u32 s1, s13, 0
	v_mov_b32_e32 v14, s1
	v_add_co_u32_e32 v16, vcc, s0, v0
	v_addc_co_u32_e32 v17, vcc, 0, v14, vcc
	v_add_co_u32_e32 v14, vcc, s2, v16
	v_addc_co_u32_e32 v15, vcc, v21, v17, vcc
	;; [unrolled: 2-line block ×3, first 2 shown]
	v_add_co_u32_e32 v18, vcc, s5, v0
	v_addc_co_u32_e64 v19, s[0:1], 0, 0, vcc
	v_add_co_u32_e32 v3, vcc, s4, v3
	v_addc_co_u32_e32 v2, vcc, 0, v2, vcc
	v_add_co_u32_e32 v20, vcc, s2, v3
	v_addc_co_u32_e32 v21, vcc, v21, v2, vcc
	;; [unrolled: 2-line block ×3, first 2 shown]
	v_add_co_u32_e32 v24, vcc, s4, v0
	v_mov_b32_e32 v1, 0
	v_addc_co_u32_e64 v25, s[0:1], 0, 0, vcc
	s_mov_b64 s[12:13], 0
	v_pk_mov_b32 v[2:3], s[14:15], s[14:15] op_sel:[0,1]
	s_branch .LBB13_9
.LBB13_8:                               ;   in Loop: Header=BB13_9 Depth=1
	s_or_b64 exec, exec, s[0:1]
	s_add_u32 s12, s12, s16
	v_mov_b32_e32 v26, 0xffff
	s_addc_u32 s13, s13, 0
	v_mov_b32_e32 v27, 0
	v_cmp_ge_i64_e32 vcc, s[12:13], v[2:3]
	v_cmp_gt_u64_e64 s[0:1], s[12:13], v[26:27]
	s_or_b64 s[0:1], vcc, s[0:1]
	s_and_b64 vcc, exec, s[0:1]
	s_cbranch_vccnz .LBB13_25
.LBB13_9:                               ; =>This Inner Loop Header: Depth=1
	v_mov_b32_e32 v27, s13
	v_add_co_u32_e32 v26, vcc, s12, v0
	v_addc_co_u32_e32 v27, vcc, 0, v27, vcc
	v_cmp_gt_u64_e32 vcc, s[10:11], v[26:27]
	v_mov_b32_e32 v27, 0
	s_and_saveexec_b64 s[2:3], vcc
	s_cbranch_execz .LBB13_11
; %bb.10:                               ;   in Loop: Header=BB13_9 Depth=1
	v_mov_b32_e32 v27, s13
	v_add_co_u32_e64 v26, s[0:1], s12, v4
	v_addc_co_u32_e64 v27, s[0:1], v5, v27, s[0:1]
	global_load_ubyte v27, v[26:27], off
.LBB13_11:                              ;   in Loop: Header=BB13_9 Depth=1
	s_or_b64 exec, exec, s[2:3]
	v_mov_b32_e32 v26, s13
	v_add_co_u32_e64 v28, s[0:1], s12, v24
	v_addc_co_u32_e64 v29, s[0:1], v25, v26, s[0:1]
	v_cmp_gt_u64_e64 s[0:1], s[10:11], v[28:29]
	v_mov_b32_e32 v26, 0
	v_mov_b32_e32 v28, 0
	s_and_saveexec_b64 s[4:5], s[0:1]
	s_cbranch_execz .LBB13_13
; %bb.12:                               ;   in Loop: Header=BB13_9 Depth=1
	v_mov_b32_e32 v29, s13
	v_add_co_u32_e64 v28, s[2:3], s12, v20
	v_addc_co_u32_e64 v29, s[2:3], v21, v29, s[2:3]
	global_load_ubyte v28, v[28:29], off
.LBB13_13:                              ;   in Loop: Header=BB13_9 Depth=1
	s_or_b64 exec, exec, s[4:5]
	v_mov_b32_e32 v29, s13
	v_add_co_u32_e64 v30, s[2:3], s12, v18
	v_addc_co_u32_e64 v31, s[2:3], v19, v29, s[2:3]
	v_cmp_gt_u64_e64 s[2:3], s[10:11], v[30:31]
	s_and_saveexec_b64 s[6:7], s[2:3]
	s_cbranch_execz .LBB13_15
; %bb.14:                               ;   in Loop: Header=BB13_9 Depth=1
	v_mov_b32_e32 v26, s13
	v_add_co_u32_e64 v30, s[4:5], s12, v14
	v_addc_co_u32_e64 v31, s[4:5], v15, v26, s[4:5]
	global_load_ubyte v26, v[30:31], off
.LBB13_15:                              ;   in Loop: Header=BB13_9 Depth=1
	s_or_b64 exec, exec, s[6:7]
	v_mov_b32_e32 v29, s13
	v_add_co_u32_e64 v30, s[4:5], s12, v12
	v_addc_co_u32_e64 v31, s[4:5], v13, v29, s[4:5]
	v_cmp_gt_u64_e64 s[4:5], s[10:11], v[30:31]
	v_mov_b32_e32 v29, 0
	s_and_saveexec_b64 s[14:15], s[4:5]
	s_cbranch_execz .LBB13_17
; %bb.16:                               ;   in Loop: Header=BB13_9 Depth=1
	v_mov_b32_e32 v29, s13
	v_add_co_u32_e64 v30, s[6:7], s12, v8
	v_addc_co_u32_e64 v31, s[6:7], v9, v29, s[6:7]
	global_load_ubyte v29, v[30:31], off
.LBB13_17:                              ;   in Loop: Header=BB13_9 Depth=1
	s_or_b64 exec, exec, s[14:15]
	global_load_ubyte v30, v1, s[8:9]
	s_waitcnt vmcnt(0)
	v_mul_lo_u32 v30, v30, s17
	s_and_saveexec_b64 s[6:7], vcc
	s_cbranch_execnz .LBB13_21
; %bb.18:                               ;   in Loop: Header=BB13_9 Depth=1
	s_or_b64 exec, exec, s[6:7]
	s_and_saveexec_b64 s[6:7], s[0:1]
	s_cbranch_execnz .LBB13_22
.LBB13_19:                              ;   in Loop: Header=BB13_9 Depth=1
	s_or_b64 exec, exec, s[6:7]
	s_and_saveexec_b64 s[0:1], s[2:3]
	s_cbranch_execnz .LBB13_23
.LBB13_20:                              ;   in Loop: Header=BB13_9 Depth=1
	s_or_b64 exec, exec, s[0:1]
	s_and_saveexec_b64 s[0:1], s[4:5]
	s_cbranch_execz .LBB13_8
	s_branch .LBB13_24
.LBB13_21:                              ;   in Loop: Header=BB13_9 Depth=1
	v_mov_b32_e32 v31, s13
	v_add_co_u32_e32 v32, vcc, s12, v6
	v_addc_co_u32_e32 v33, vcc, v7, v31, vcc
	v_add_u16_e32 v27, v30, v27
	global_store_byte v[32:33], v27, off
	s_or_b64 exec, exec, s[6:7]
	s_and_saveexec_b64 s[6:7], s[0:1]
	s_cbranch_execz .LBB13_19
.LBB13_22:                              ;   in Loop: Header=BB13_9 Depth=1
	v_add_u16_e32 v27, v30, v28
	v_mov_b32_e32 v28, s13
	v_add_co_u32_e32 v32, vcc, s12, v22
	v_addc_co_u32_e32 v33, vcc, v23, v28, vcc
	global_store_byte v[32:33], v27, off
	s_or_b64 exec, exec, s[6:7]
	s_and_saveexec_b64 s[0:1], s[2:3]
	s_cbranch_execz .LBB13_20
.LBB13_23:                              ;   in Loop: Header=BB13_9 Depth=1
	v_add_u16_e32 v28, v30, v26
	v_mov_b32_e32 v27, s13
	v_add_co_u32_e32 v26, vcc, s12, v16
	v_addc_co_u32_e32 v27, vcc, v17, v27, vcc
	global_store_byte v[26:27], v28, off
	s_or_b64 exec, exec, s[0:1]
	s_and_saveexec_b64 s[0:1], s[4:5]
	s_cbranch_execz .LBB13_8
.LBB13_24:                              ;   in Loop: Header=BB13_9 Depth=1
	v_mov_b32_e32 v27, s13
	v_add_co_u32_e32 v26, vcc, s12, v10
	v_add_u16_e32 v28, v30, v29
	v_addc_co_u32_e32 v27, vcc, v11, v27, vcc
	global_store_byte v[26:27], v28, off
	s_branch .LBB13_8
.LBB13_25:
	s_endpgm
	.section	.rodata,"a",@progbits
	.p2align	6, 0x0
	.amdhsa_kernel _ZN2at6native12_GLOBAL__N_125multi_tensor_apply_kernelINS1_18TensorListMetadataILi2EEENS1_27BinaryOpScalarTensorFunctorIaLi2ELi1ELi1EEEJSt4plusIaEPaaEEEvT_T0_DpT1_
		.amdhsa_group_segment_fixed_size 0
		.amdhsa_private_segment_fixed_size 0
		.amdhsa_kernarg_size 3424
		.amdhsa_user_sgpr_count 6
		.amdhsa_user_sgpr_private_segment_buffer 1
		.amdhsa_user_sgpr_dispatch_ptr 0
		.amdhsa_user_sgpr_queue_ptr 0
		.amdhsa_user_sgpr_kernarg_segment_ptr 1
		.amdhsa_user_sgpr_dispatch_id 0
		.amdhsa_user_sgpr_flat_scratch_init 0
		.amdhsa_user_sgpr_kernarg_preload_length 0
		.amdhsa_user_sgpr_kernarg_preload_offset 0
		.amdhsa_user_sgpr_private_segment_size 0
		.amdhsa_uses_dynamic_stack 0
		.amdhsa_system_sgpr_private_segment_wavefront_offset 0
		.amdhsa_system_sgpr_workgroup_id_x 1
		.amdhsa_system_sgpr_workgroup_id_y 0
		.amdhsa_system_sgpr_workgroup_id_z 0
		.amdhsa_system_sgpr_workgroup_info 0
		.amdhsa_system_vgpr_workitem_id 0
		.amdhsa_next_free_vgpr 34
		.amdhsa_next_free_sgpr 25
		.amdhsa_accum_offset 36
		.amdhsa_reserve_vcc 1
		.amdhsa_reserve_flat_scratch 0
		.amdhsa_float_round_mode_32 0
		.amdhsa_float_round_mode_16_64 0
		.amdhsa_float_denorm_mode_32 3
		.amdhsa_float_denorm_mode_16_64 3
		.amdhsa_dx10_clamp 1
		.amdhsa_ieee_mode 1
		.amdhsa_fp16_overflow 0
		.amdhsa_tg_split 0
		.amdhsa_exception_fp_ieee_invalid_op 0
		.amdhsa_exception_fp_denorm_src 0
		.amdhsa_exception_fp_ieee_div_zero 0
		.amdhsa_exception_fp_ieee_overflow 0
		.amdhsa_exception_fp_ieee_underflow 0
		.amdhsa_exception_fp_ieee_inexact 0
		.amdhsa_exception_int_div_zero 0
	.end_amdhsa_kernel
	.section	.text._ZN2at6native12_GLOBAL__N_125multi_tensor_apply_kernelINS1_18TensorListMetadataILi2EEENS1_27BinaryOpScalarTensorFunctorIaLi2ELi1ELi1EEEJSt4plusIaEPaaEEEvT_T0_DpT1_,"axG",@progbits,_ZN2at6native12_GLOBAL__N_125multi_tensor_apply_kernelINS1_18TensorListMetadataILi2EEENS1_27BinaryOpScalarTensorFunctorIaLi2ELi1ELi1EEEJSt4plusIaEPaaEEEvT_T0_DpT1_,comdat
.Lfunc_end13:
	.size	_ZN2at6native12_GLOBAL__N_125multi_tensor_apply_kernelINS1_18TensorListMetadataILi2EEENS1_27BinaryOpScalarTensorFunctorIaLi2ELi1ELi1EEEJSt4plusIaEPaaEEEvT_T0_DpT1_, .Lfunc_end13-_ZN2at6native12_GLOBAL__N_125multi_tensor_apply_kernelINS1_18TensorListMetadataILi2EEENS1_27BinaryOpScalarTensorFunctorIaLi2ELi1ELi1EEEJSt4plusIaEPaaEEEvT_T0_DpT1_
                                        ; -- End function
	.section	.AMDGPU.csdata,"",@progbits
; Kernel info:
; codeLenInByte = 1240
; NumSgprs: 29
; NumVgprs: 34
; NumAgprs: 0
; TotalNumVgprs: 34
; ScratchSize: 0
; MemoryBound: 0
; FloatMode: 240
; IeeeMode: 1
; LDSByteSize: 0 bytes/workgroup (compile time only)
; SGPRBlocks: 3
; VGPRBlocks: 4
; NumSGPRsForWavesPerEU: 29
; NumVGPRsForWavesPerEU: 34
; AccumOffset: 36
; Occupancy: 8
; WaveLimiterHint : 0
; COMPUTE_PGM_RSRC2:SCRATCH_EN: 0
; COMPUTE_PGM_RSRC2:USER_SGPR: 6
; COMPUTE_PGM_RSRC2:TRAP_HANDLER: 0
; COMPUTE_PGM_RSRC2:TGID_X_EN: 1
; COMPUTE_PGM_RSRC2:TGID_Y_EN: 0
; COMPUTE_PGM_RSRC2:TGID_Z_EN: 0
; COMPUTE_PGM_RSRC2:TIDIG_COMP_CNT: 0
; COMPUTE_PGM_RSRC3_GFX90A:ACCUM_OFFSET: 8
; COMPUTE_PGM_RSRC3_GFX90A:TG_SPLIT: 0
	.section	.text._ZN2at6native12_GLOBAL__N_125multi_tensor_apply_kernelINS1_18TensorListMetadataILi2EEENS1_27BinaryOpScalarTensorFunctorIiLi2ELi1ELi1EEEJSt4plusIiEPiiEEEvT_T0_DpT1_,"axG",@progbits,_ZN2at6native12_GLOBAL__N_125multi_tensor_apply_kernelINS1_18TensorListMetadataILi2EEENS1_27BinaryOpScalarTensorFunctorIiLi2ELi1ELi1EEEJSt4plusIiEPiiEEEvT_T0_DpT1_,comdat
	.globl	_ZN2at6native12_GLOBAL__N_125multi_tensor_apply_kernelINS1_18TensorListMetadataILi2EEENS1_27BinaryOpScalarTensorFunctorIiLi2ELi1ELi1EEEJSt4plusIiEPiiEEEvT_T0_DpT1_ ; -- Begin function _ZN2at6native12_GLOBAL__N_125multi_tensor_apply_kernelINS1_18TensorListMetadataILi2EEENS1_27BinaryOpScalarTensorFunctorIiLi2ELi1ELi1EEEJSt4plusIiEPiiEEEvT_T0_DpT1_
	.p2align	8
	.type	_ZN2at6native12_GLOBAL__N_125multi_tensor_apply_kernelINS1_18TensorListMetadataILi2EEENS1_27BinaryOpScalarTensorFunctorIiLi2ELi1ELi1EEEJSt4plusIiEPiiEEEvT_T0_DpT1_,@function
_ZN2at6native12_GLOBAL__N_125multi_tensor_apply_kernelINS1_18TensorListMetadataILi2EEENS1_27BinaryOpScalarTensorFunctorIiLi2ELi1ELi1EEEJSt4plusIiEPiiEEEvT_T0_DpT1_: ; @_ZN2at6native12_GLOBAL__N_125multi_tensor_apply_kernelINS1_18TensorListMetadataILi2EEENS1_27BinaryOpScalarTensorFunctorIiLi2ELi1ELi1EEEJSt4plusIiEPiiEEEvT_T0_DpT1_
; %bb.0:
	v_mov_b32_e32 v1, s6
	global_load_ubyte v1, v1, s[4:5] offset:1536
	s_load_dword s22, s[4:5], 0xc58
	s_add_u32 s0, s4, s6
	s_mul_hi_u32 s2, s6, 3
	s_mul_i32 s6, s6, 3
	s_addc_u32 s7, s5, 0
	s_add_u32 s6, s0, s6
	s_addc_u32 s7, s7, s2
	s_load_dword s12, s[6:7], 0x740
	s_mov_b32 s1, 0
	s_mov_b32 s19, s1
	;; [unrolled: 1-line block ×3, first 2 shown]
	s_waitcnt lgkmcnt(0)
	s_ashr_i32 s13, s12, 31
	s_lshl_b64 s[10:11], s[12:13], 18
	s_lshl_b64 s[12:13], s[12:13], 16
	s_waitcnt vmcnt(0)
	v_readfirstlane_b32 s0, v1
	s_lshl_b32 s0, s0, 3
	s_load_dwordx2 s[16:17], s[4:5], s0 offset:0x0
	s_load_dwordx2 s[8:9], s[4:5], 0xc50
	s_load_dwordx2 s[14:15], s[4:5], s0 offset:0x400
	s_load_dwordx2 s[6:7], s[4:5], s0 offset:0x200
	s_waitcnt lgkmcnt(0)
	s_and_b32 s0, s16, 15
	s_and_b32 s18, s14, 3
	;; [unrolled: 1-line block ×3, first 2 shown]
	s_or_b64 s[18:19], s[0:1], s[18:19]
	s_or_b64 s[2:3], s[2:3], s[18:19]
	s_sub_u32 s12, s14, s12
	s_subb_u32 s13, s15, s13
	s_cmp_eq_u64 s[2:3], 0
	s_mov_b64 s[2:3], -1
	s_cbranch_scc0 .LBB14_5
; %bb.1:
	v_mov_b32_e32 v3, 0
	v_lshlrev_b32_e32 v2, 2, v0
	v_cmp_gt_i64_e32 vcc, s[12:13], v[2:3]
	s_and_saveexec_b64 s[14:15], vcc
	s_cbranch_execz .LBB14_4
; %bb.2:
	s_load_dword s0, s[4:5], 0xc6c
	v_lshlrev_b32_e32 v1, 4, v0
	v_mov_b32_e32 v4, s11
	v_add_co_u32_e32 v1, vcc, s10, v1
	s_waitcnt lgkmcnt(0)
	s_and_b32 s0, s0, 0xffff
	v_addc_co_u32_e32 v5, vcc, 0, v4, vcc
	v_add_lshl_u32 v2, v0, s0, 2
	v_add_co_u32_e32 v4, vcc, 8, v1
	s_lshl_b32 s23, s0, 2
	v_addc_co_u32_e32 v1, vcc, 0, v5, vcc
	s_lshl_b32 s24, s0, 4
	s_mov_b64 s[18:19], 0
	v_mov_b32_e32 v5, s17
	v_mov_b32_e32 v8, s7
	s_mov_b64 s[20:21], 0xffff
	v_mov_b32_e32 v9, s1
	v_mov_b32_e32 v10, s1
	v_pk_mov_b32 v[6:7], v[2:3], v[2:3] op_sel:[0,1]
.LBB14_3:                               ; =>This Inner Loop Header: Depth=1
	v_add_co_u32_e32 v16, vcc, s16, v4
	v_addc_co_u32_e32 v17, vcc, v5, v1, vcc
	global_load_dword v2, v3, s[8:9]
	global_load_dwordx4 v[12:15], v[16:17], off offset:-8
	v_add_co_u32_e32 v16, vcc, s6, v4
	v_addc_co_u32_e32 v17, vcc, v8, v1, vcc
	v_cmp_le_i64_e32 vcc, s[12:13], v[6:7]
	v_cmp_lt_u64_e64 s[0:1], s[20:21], v[6:7]
	v_add_co_u32_e64 v6, s[2:3], s23, v6
	v_addc_co_u32_e64 v7, s[2:3], v7, v9, s[2:3]
	s_or_b64 s[0:1], vcc, s[0:1]
	v_add_co_u32_e64 v4, s[2:3], s24, v4
	s_and_b64 s[0:1], exec, s[0:1]
	v_addc_co_u32_e64 v1, s[2:3], v1, v10, s[2:3]
	s_or_b64 s[18:19], s[0:1], s[18:19]
	s_waitcnt vmcnt(1)
	v_mul_lo_u32 v2, v2, s22
	s_waitcnt vmcnt(0)
	v_add_u32_e32 v13, v2, v13
	v_add_u32_e32 v12, v2, v12
	;; [unrolled: 1-line block ×4, first 2 shown]
	global_store_dwordx4 v[16:17], v[12:15], off offset:-8
	s_andn2_b64 exec, exec, s[18:19]
	s_cbranch_execnz .LBB14_3
.LBB14_4:
	s_or_b64 exec, exec, s[14:15]
	s_mov_b64 s[2:3], 0
.LBB14_5:
	s_andn2_b64 vcc, exec, s[2:3]
	s_cbranch_vccnz .LBB14_25
; %bb.6:
	v_cmp_lt_i64_e64 s[0:1], s[12:13], 1
	s_and_b64 vcc, exec, s[0:1]
	s_cbranch_vccnz .LBB14_25
; %bb.7:
	s_load_dword s0, s[4:5], 0xc6c
	v_mov_b32_e32 v4, 0x10000
	v_mov_b32_e32 v5, 0
	v_cmp_lt_u64_e32 vcc, s[12:13], v[4:5]
	v_lshlrev_b32_e32 v2, 2, v0
	s_waitcnt lgkmcnt(0)
	s_and_b32 s2, s0, 0xffff
	s_and_b64 s[0:1], vcc, exec
	v_mov_b32_e32 v15, s17
	v_add_co_u32_e32 v4, vcc, s16, v2
	v_addc_co_u32_e32 v1, vcc, 0, v15, vcc
	v_mov_b32_e32 v3, 0
	v_mov_b32_e32 v17, s7
	v_add_co_u32_e32 v6, vcc, s6, v2
	v_addc_co_u32_e32 v5, vcc, 0, v17, vcc
	v_mad_u64_u32 v[10:11], s[0:1], s2, 12, v[2:3]
	v_add_co_u32_e32 v8, vcc, s16, v10
	v_addc_co_u32_e32 v7, vcc, v15, v11, vcc
	v_add_co_u32_e32 v10, vcc, s6, v10
	s_mul_i32 s4, s2, 3
	v_addc_co_u32_e32 v9, vcc, v17, v11, vcc
	v_add_co_u32_e32 v18, vcc, s4, v0
	v_addc_co_u32_e64 v19, s[0:1], 0, 0, vcc
	s_cselect_b32 s15, s13, 0
	s_cselect_b32 s14, s12, 0x10000
	s_lshl_b32 s0, s2, 3
	v_add_co_u32_e32 v12, vcc, s0, v2
	v_addc_co_u32_e64 v13, s[0:1], 0, 0, vcc
	v_add_co_u32_e32 v2, vcc, s16, v12
	v_addc_co_u32_e32 v11, vcc, v15, v13, vcc
	v_add_co_u32_e32 v12, vcc, s6, v12
	s_lshl_b32 s3, s2, 1
	v_addc_co_u32_e32 v13, vcc, v17, v13, vcc
	v_add_co_u32_e32 v20, vcc, s3, v0
	v_addc_co_u32_e64 v21, s[0:1], 0, 0, vcc
	v_add_co_u32_e32 v22, vcc, s2, v0
	v_lshlrev_b32_e32 v16, 2, v22
	v_addc_co_u32_e64 v23, s[0:1], 0, 0, vcc
	v_add_co_u32_e32 v14, vcc, s16, v16
	v_addc_co_u32_e32 v15, vcc, 0, v15, vcc
	v_add_co_u32_e32 v16, vcc, s6, v16
	s_mov_b32 s20, 0
	s_lshl_b32 s21, s2, 2
	s_lshl_b32 s23, s2, 4
	v_addc_co_u32_e32 v17, vcc, 0, v17, vcc
	s_mov_b64 s[16:17], 0
	s_branch .LBB14_9
.LBB14_8:                               ;   in Loop: Header=BB14_9 Depth=1
	s_or_b64 exec, exec, s[0:1]
	s_add_u32 s16, s16, s21
	s_addc_u32 s17, s17, 0
	v_pk_mov_b32 v[24:25], s[12:13], s[12:13] op_sel:[0,1]
	v_cmp_ge_i64_e32 vcc, s[16:17], v[24:25]
	v_mov_b32_e32 v24, 0xffff
	v_mov_b32_e32 v25, 0
	v_cmp_gt_u64_e64 s[0:1], s[16:17], v[24:25]
	s_or_b64 s[0:1], vcc, s[0:1]
	v_mov_b32_e32 v24, s20
	v_add_co_u32_e32 v4, vcc, s23, v4
	v_addc_co_u32_e32 v1, vcc, v1, v24, vcc
	v_add_co_u32_e32 v6, vcc, s23, v6
	v_addc_co_u32_e32 v5, vcc, v5, v24, vcc
	;; [unrolled: 2-line block ×8, first 2 shown]
	s_and_b64 vcc, exec, s[0:1]
	s_cbranch_vccnz .LBB14_25
.LBB14_9:                               ; =>This Inner Loop Header: Depth=1
	v_mov_b32_e32 v25, s17
	v_add_co_u32_e32 v24, vcc, s16, v0
	v_addc_co_u32_e32 v25, vcc, 0, v25, vcc
	v_cmp_gt_u64_e32 vcc, s[14:15], v[24:25]
	v_mov_b32_e32 v25, 0
	s_and_saveexec_b64 s[2:3], vcc
	s_cbranch_execz .LBB14_11
; %bb.10:                               ;   in Loop: Header=BB14_9 Depth=1
	v_mov_b32_e32 v25, s11
	v_add_co_u32_e64 v24, s[0:1], s10, v4
	v_addc_co_u32_e64 v25, s[0:1], v1, v25, s[0:1]
	global_load_dword v25, v[24:25], off
.LBB14_11:                              ;   in Loop: Header=BB14_9 Depth=1
	s_or_b64 exec, exec, s[2:3]
	v_mov_b32_e32 v24, s17
	v_add_co_u32_e64 v26, s[0:1], s16, v22
	v_addc_co_u32_e64 v27, s[0:1], v23, v24, s[0:1]
	v_cmp_gt_u64_e64 s[0:1], s[14:15], v[26:27]
	v_mov_b32_e32 v24, 0
	v_mov_b32_e32 v26, 0
	s_and_saveexec_b64 s[4:5], s[0:1]
	s_cbranch_execz .LBB14_13
; %bb.12:                               ;   in Loop: Header=BB14_9 Depth=1
	v_mov_b32_e32 v27, s11
	v_add_co_u32_e64 v26, s[2:3], s10, v14
	v_addc_co_u32_e64 v27, s[2:3], v15, v27, s[2:3]
	global_load_dword v26, v[26:27], off
.LBB14_13:                              ;   in Loop: Header=BB14_9 Depth=1
	s_or_b64 exec, exec, s[4:5]
	v_mov_b32_e32 v27, s17
	v_add_co_u32_e64 v28, s[2:3], s16, v20
	v_addc_co_u32_e64 v29, s[2:3], v21, v27, s[2:3]
	v_cmp_gt_u64_e64 s[2:3], s[14:15], v[28:29]
	s_and_saveexec_b64 s[6:7], s[2:3]
	s_cbranch_execz .LBB14_15
; %bb.14:                               ;   in Loop: Header=BB14_9 Depth=1
	v_mov_b32_e32 v24, s11
	v_add_co_u32_e64 v28, s[4:5], s10, v2
	v_addc_co_u32_e64 v29, s[4:5], v11, v24, s[4:5]
	global_load_dword v24, v[28:29], off
.LBB14_15:                              ;   in Loop: Header=BB14_9 Depth=1
	s_or_b64 exec, exec, s[6:7]
	v_mov_b32_e32 v27, s17
	v_add_co_u32_e64 v28, s[4:5], s16, v18
	v_addc_co_u32_e64 v29, s[4:5], v19, v27, s[4:5]
	v_cmp_gt_u64_e64 s[4:5], s[14:15], v[28:29]
	v_mov_b32_e32 v27, 0
	s_and_saveexec_b64 s[18:19], s[4:5]
	s_cbranch_execz .LBB14_17
; %bb.16:                               ;   in Loop: Header=BB14_9 Depth=1
	v_mov_b32_e32 v27, s11
	v_add_co_u32_e64 v28, s[6:7], s10, v8
	v_addc_co_u32_e64 v29, s[6:7], v7, v27, s[6:7]
	global_load_dword v27, v[28:29], off
.LBB14_17:                              ;   in Loop: Header=BB14_9 Depth=1
	s_or_b64 exec, exec, s[18:19]
	global_load_dword v28, v3, s[8:9]
	s_waitcnt vmcnt(0)
	v_mul_lo_u32 v28, v28, s22
	s_and_saveexec_b64 s[6:7], vcc
	s_cbranch_execnz .LBB14_21
; %bb.18:                               ;   in Loop: Header=BB14_9 Depth=1
	s_or_b64 exec, exec, s[6:7]
	s_and_saveexec_b64 s[6:7], s[0:1]
	s_cbranch_execnz .LBB14_22
.LBB14_19:                              ;   in Loop: Header=BB14_9 Depth=1
	s_or_b64 exec, exec, s[6:7]
	s_and_saveexec_b64 s[0:1], s[2:3]
	s_cbranch_execnz .LBB14_23
.LBB14_20:                              ;   in Loop: Header=BB14_9 Depth=1
	s_or_b64 exec, exec, s[0:1]
	s_and_saveexec_b64 s[0:1], s[4:5]
	s_cbranch_execz .LBB14_8
	s_branch .LBB14_24
.LBB14_21:                              ;   in Loop: Header=BB14_9 Depth=1
	v_mov_b32_e32 v29, s11
	v_add_co_u32_e32 v30, vcc, s10, v6
	v_addc_co_u32_e32 v31, vcc, v5, v29, vcc
	v_add_u32_e32 v25, v28, v25
	global_store_dword v[30:31], v25, off
	s_or_b64 exec, exec, s[6:7]
	s_and_saveexec_b64 s[6:7], s[0:1]
	s_cbranch_execz .LBB14_19
.LBB14_22:                              ;   in Loop: Header=BB14_9 Depth=1
	v_add_u32_e32 v25, v28, v26
	v_mov_b32_e32 v26, s11
	v_add_co_u32_e32 v30, vcc, s10, v16
	v_addc_co_u32_e32 v31, vcc, v17, v26, vcc
	global_store_dword v[30:31], v25, off
	s_or_b64 exec, exec, s[6:7]
	s_and_saveexec_b64 s[0:1], s[2:3]
	s_cbranch_execz .LBB14_20
.LBB14_23:                              ;   in Loop: Header=BB14_9 Depth=1
	v_add_u32_e32 v26, v28, v24
	v_mov_b32_e32 v25, s11
	v_add_co_u32_e32 v24, vcc, s10, v12
	v_addc_co_u32_e32 v25, vcc, v13, v25, vcc
	global_store_dword v[24:25], v26, off
	s_or_b64 exec, exec, s[0:1]
	s_and_saveexec_b64 s[0:1], s[4:5]
	s_cbranch_execz .LBB14_8
.LBB14_24:                              ;   in Loop: Header=BB14_9 Depth=1
	v_mov_b32_e32 v25, s11
	v_add_co_u32_e32 v24, vcc, s10, v10
	v_add_u32_e32 v26, v28, v27
	v_addc_co_u32_e32 v25, vcc, v9, v25, vcc
	global_store_dword v[24:25], v26, off
	s_branch .LBB14_8
.LBB14_25:
	s_endpgm
	.section	.rodata,"a",@progbits
	.p2align	6, 0x0
	.amdhsa_kernel _ZN2at6native12_GLOBAL__N_125multi_tensor_apply_kernelINS1_18TensorListMetadataILi2EEENS1_27BinaryOpScalarTensorFunctorIiLi2ELi1ELi1EEEJSt4plusIiEPiiEEEvT_T0_DpT1_
		.amdhsa_group_segment_fixed_size 0
		.amdhsa_private_segment_fixed_size 0
		.amdhsa_kernarg_size 3424
		.amdhsa_user_sgpr_count 6
		.amdhsa_user_sgpr_private_segment_buffer 1
		.amdhsa_user_sgpr_dispatch_ptr 0
		.amdhsa_user_sgpr_queue_ptr 0
		.amdhsa_user_sgpr_kernarg_segment_ptr 1
		.amdhsa_user_sgpr_dispatch_id 0
		.amdhsa_user_sgpr_flat_scratch_init 0
		.amdhsa_user_sgpr_kernarg_preload_length 0
		.amdhsa_user_sgpr_kernarg_preload_offset 0
		.amdhsa_user_sgpr_private_segment_size 0
		.amdhsa_uses_dynamic_stack 0
		.amdhsa_system_sgpr_private_segment_wavefront_offset 0
		.amdhsa_system_sgpr_workgroup_id_x 1
		.amdhsa_system_sgpr_workgroup_id_y 0
		.amdhsa_system_sgpr_workgroup_id_z 0
		.amdhsa_system_sgpr_workgroup_info 0
		.amdhsa_system_vgpr_workitem_id 0
		.amdhsa_next_free_vgpr 32
		.amdhsa_next_free_sgpr 25
		.amdhsa_accum_offset 32
		.amdhsa_reserve_vcc 1
		.amdhsa_reserve_flat_scratch 0
		.amdhsa_float_round_mode_32 0
		.amdhsa_float_round_mode_16_64 0
		.amdhsa_float_denorm_mode_32 3
		.amdhsa_float_denorm_mode_16_64 3
		.amdhsa_dx10_clamp 1
		.amdhsa_ieee_mode 1
		.amdhsa_fp16_overflow 0
		.amdhsa_tg_split 0
		.amdhsa_exception_fp_ieee_invalid_op 0
		.amdhsa_exception_fp_denorm_src 0
		.amdhsa_exception_fp_ieee_div_zero 0
		.amdhsa_exception_fp_ieee_overflow 0
		.amdhsa_exception_fp_ieee_underflow 0
		.amdhsa_exception_fp_ieee_inexact 0
		.amdhsa_exception_int_div_zero 0
	.end_amdhsa_kernel
	.section	.text._ZN2at6native12_GLOBAL__N_125multi_tensor_apply_kernelINS1_18TensorListMetadataILi2EEENS1_27BinaryOpScalarTensorFunctorIiLi2ELi1ELi1EEEJSt4plusIiEPiiEEEvT_T0_DpT1_,"axG",@progbits,_ZN2at6native12_GLOBAL__N_125multi_tensor_apply_kernelINS1_18TensorListMetadataILi2EEENS1_27BinaryOpScalarTensorFunctorIiLi2ELi1ELi1EEEJSt4plusIiEPiiEEEvT_T0_DpT1_,comdat
.Lfunc_end14:
	.size	_ZN2at6native12_GLOBAL__N_125multi_tensor_apply_kernelINS1_18TensorListMetadataILi2EEENS1_27BinaryOpScalarTensorFunctorIiLi2ELi1ELi1EEEJSt4plusIiEPiiEEEvT_T0_DpT1_, .Lfunc_end14-_ZN2at6native12_GLOBAL__N_125multi_tensor_apply_kernelINS1_18TensorListMetadataILi2EEENS1_27BinaryOpScalarTensorFunctorIiLi2ELi1ELi1EEEJSt4plusIiEPiiEEEvT_T0_DpT1_
                                        ; -- End function
	.section	.AMDGPU.csdata,"",@progbits
; Kernel info:
; codeLenInByte = 1284
; NumSgprs: 29
; NumVgprs: 32
; NumAgprs: 0
; TotalNumVgprs: 32
; ScratchSize: 0
; MemoryBound: 0
; FloatMode: 240
; IeeeMode: 1
; LDSByteSize: 0 bytes/workgroup (compile time only)
; SGPRBlocks: 3
; VGPRBlocks: 3
; NumSGPRsForWavesPerEU: 29
; NumVGPRsForWavesPerEU: 32
; AccumOffset: 32
; Occupancy: 8
; WaveLimiterHint : 0
; COMPUTE_PGM_RSRC2:SCRATCH_EN: 0
; COMPUTE_PGM_RSRC2:USER_SGPR: 6
; COMPUTE_PGM_RSRC2:TRAP_HANDLER: 0
; COMPUTE_PGM_RSRC2:TGID_X_EN: 1
; COMPUTE_PGM_RSRC2:TGID_Y_EN: 0
; COMPUTE_PGM_RSRC2:TGID_Z_EN: 0
; COMPUTE_PGM_RSRC2:TIDIG_COMP_CNT: 0
; COMPUTE_PGM_RSRC3_GFX90A:ACCUM_OFFSET: 7
; COMPUTE_PGM_RSRC3_GFX90A:TG_SPLIT: 0
	.section	.text._ZN2at6native12_GLOBAL__N_125multi_tensor_apply_kernelINS1_18TensorListMetadataILi2EEENS1_27BinaryOpScalarTensorFunctorIlLi2ELi1ELi1EEEJSt4plusIlEPllEEEvT_T0_DpT1_,"axG",@progbits,_ZN2at6native12_GLOBAL__N_125multi_tensor_apply_kernelINS1_18TensorListMetadataILi2EEENS1_27BinaryOpScalarTensorFunctorIlLi2ELi1ELi1EEEJSt4plusIlEPllEEEvT_T0_DpT1_,comdat
	.globl	_ZN2at6native12_GLOBAL__N_125multi_tensor_apply_kernelINS1_18TensorListMetadataILi2EEENS1_27BinaryOpScalarTensorFunctorIlLi2ELi1ELi1EEEJSt4plusIlEPllEEEvT_T0_DpT1_ ; -- Begin function _ZN2at6native12_GLOBAL__N_125multi_tensor_apply_kernelINS1_18TensorListMetadataILi2EEENS1_27BinaryOpScalarTensorFunctorIlLi2ELi1ELi1EEEJSt4plusIlEPllEEEvT_T0_DpT1_
	.p2align	8
	.type	_ZN2at6native12_GLOBAL__N_125multi_tensor_apply_kernelINS1_18TensorListMetadataILi2EEENS1_27BinaryOpScalarTensorFunctorIlLi2ELi1ELi1EEEJSt4plusIlEPllEEEvT_T0_DpT1_,@function
_ZN2at6native12_GLOBAL__N_125multi_tensor_apply_kernelINS1_18TensorListMetadataILi2EEENS1_27BinaryOpScalarTensorFunctorIlLi2ELi1ELi1EEEJSt4plusIlEPllEEEvT_T0_DpT1_: ; @_ZN2at6native12_GLOBAL__N_125multi_tensor_apply_kernelINS1_18TensorListMetadataILi2EEENS1_27BinaryOpScalarTensorFunctorIlLi2ELi1ELi1EEEJSt4plusIlEPllEEEvT_T0_DpT1_
; %bb.0:
	v_mov_b32_e32 v1, s6
	global_load_ubyte v1, v1, s[4:5] offset:1536
	s_load_dwordx4 s[8:11], s[4:5], 0xc50
	s_add_u32 s0, s4, s6
	s_mul_hi_u32 s2, s6, 3
	s_mul_i32 s6, s6, 3
	s_addc_u32 s7, s5, 0
	s_add_u32 s6, s0, s6
	s_addc_u32 s7, s7, s2
	s_load_dword s14, s[6:7], 0x740
	s_mov_b32 s1, 0
	s_mov_b32 s17, s1
	;; [unrolled: 1-line block ×3, first 2 shown]
	s_waitcnt vmcnt(0)
	v_readfirstlane_b32 s0, v1
	s_lshl_b32 s0, s0, 3
	s_load_dwordx2 s[18:19], s[4:5], s0 offset:0x0
	s_load_dwordx2 s[20:21], s[4:5], s0 offset:0x400
	s_load_dwordx2 s[6:7], s[4:5], s0 offset:0x200
	s_waitcnt lgkmcnt(0)
	s_ashr_i32 s15, s14, 31
	s_lshl_b64 s[12:13], s[14:15], 19
	s_add_u32 s24, s18, s12
	s_addc_u32 s25, s19, s13
	s_and_b32 s0, s24, 31
	s_add_u32 s26, s6, s12
	s_addc_u32 s27, s7, s13
	s_and_b32 s16, s20, 3
	s_and_b32 s2, s26, 31
	s_or_b64 s[16:17], s[0:1], s[16:17]
	s_or_b64 s[2:3], s[2:3], s[16:17]
	s_lshl_b64 s[14:15], s[14:15], 16
	s_sub_u32 s14, s20, s14
	s_subb_u32 s15, s21, s15
	s_cmp_eq_u64 s[2:3], 0
	s_mov_b64 s[2:3], -1
	s_cbranch_scc0 .LBB15_5
; %bb.1:
	v_mov_b32_e32 v3, 0
	v_lshlrev_b32_e32 v2, 2, v0
	v_cmp_gt_i64_e32 vcc, s[14:15], v[2:3]
	s_and_saveexec_b64 s[16:17], vcc
	s_cbranch_execz .LBB15_4
; %bb.2:
	s_load_dword s0, s[4:5], 0xc6c
	v_lshlrev_b32_e32 v4, 5, v0
	s_mov_b64 s[20:21], 0
	s_mov_b64 s[22:23], 0xffff
	v_mov_b32_e32 v1, s1
	s_waitcnt lgkmcnt(0)
	s_and_b32 s0, s0, 0xffff
	v_add_lshl_u32 v2, v0, s0, 2
	s_lshl_b32 s28, s0, 2
	s_lshl_b32 s29, s0, 5
	v_pk_mov_b32 v[6:7], v[2:3], v[2:3] op_sel:[0,1]
.LBB15_3:                               ; =>This Inner Loop Header: Depth=1
	v_mov_b32_e32 v2, s25
	global_load_dwordx2 v[16:17], v3, s[8:9]
	v_add_co_u32_e32 v18, vcc, s24, v4
	v_addc_co_u32_e32 v19, vcc, 0, v2, vcc
	global_load_dwordx4 v[8:11], v[18:19], off
	global_load_dwordx4 v[12:15], v[18:19], off offset:16
	v_cmp_le_i64_e32 vcc, s[14:15], v[6:7]
	v_cmp_lt_u64_e64 s[0:1], s[22:23], v[6:7]
	s_or_b64 s[0:1], vcc, s[0:1]
	v_add_co_u32_e64 v6, s[2:3], s28, v6
	s_add_u32 s24, s24, s29
	v_addc_co_u32_e64 v7, s[2:3], v7, v1, s[2:3]
	s_addc_u32 s25, s25, 0
	v_add_co_u32_e64 v18, s[2:3], s26, v4
	s_add_u32 s26, s26, s29
	v_mov_b32_e32 v2, s27
	s_addc_u32 s27, s27, 0
	v_addc_co_u32_e64 v19, s[2:3], 0, v2, s[2:3]
	s_and_b64 s[0:1], exec, s[0:1]
	s_or_b64 s[20:21], s[0:1], s[20:21]
	s_waitcnt vmcnt(2)
	v_mul_lo_u32 v2, v17, s10
	v_mul_lo_u32 v5, v16, s11
	v_add_u32_e32 v2, v5, v2
	s_waitcnt vmcnt(1)
	v_mad_u64_u32 v[8:9], s[0:1], v16, s10, v[8:9]
	v_mad_u64_u32 v[10:11], s[0:1], v16, s10, v[10:11]
	s_waitcnt vmcnt(0)
	v_mad_u64_u32 v[12:13], s[0:1], v16, s10, v[12:13]
	v_mad_u64_u32 v[14:15], s[0:1], v16, s10, v[14:15]
	v_add_u32_e32 v9, v2, v9
	v_add_u32_e32 v11, v2, v11
	;; [unrolled: 1-line block ×4, first 2 shown]
	global_store_dwordx4 v[18:19], v[8:11], off
	global_store_dwordx4 v[18:19], v[12:15], off offset:16
	s_andn2_b64 exec, exec, s[20:21]
	s_cbranch_execnz .LBB15_3
.LBB15_4:
	s_or_b64 exec, exec, s[16:17]
	s_mov_b64 s[2:3], 0
.LBB15_5:
	s_andn2_b64 vcc, exec, s[2:3]
	s_cbranch_vccnz .LBB15_25
; %bb.6:
	v_cmp_lt_i64_e64 s[0:1], s[14:15], 1
	s_and_b64 vcc, exec, s[0:1]
	s_cbranch_vccnz .LBB15_25
; %bb.7:
	s_load_dword s0, s[4:5], 0xc6c
	v_mov_b32_e32 v4, 0x10000
	v_mov_b32_e32 v5, 0
	v_cmp_lt_u64_e32 vcc, s[14:15], v[4:5]
	v_lshlrev_b32_e32 v2, 3, v0
	s_waitcnt lgkmcnt(0)
	s_and_b32 s2, s0, 0xffff
	s_and_b64 s[0:1], vcc, exec
	v_mov_b32_e32 v15, s19
	v_add_co_u32_e32 v4, vcc, s18, v2
	v_addc_co_u32_e32 v1, vcc, 0, v15, vcc
	v_mov_b32_e32 v3, 0
	v_mov_b32_e32 v17, s7
	v_add_co_u32_e32 v6, vcc, s6, v2
	v_addc_co_u32_e32 v5, vcc, 0, v17, vcc
	v_mad_u64_u32 v[10:11], s[0:1], s2, 24, v[2:3]
	v_add_co_u32_e32 v8, vcc, s18, v10
	v_addc_co_u32_e32 v7, vcc, v15, v11, vcc
	v_add_co_u32_e32 v10, vcc, s6, v10
	s_mul_i32 s4, s2, 3
	v_addc_co_u32_e32 v9, vcc, v17, v11, vcc
	v_add_co_u32_e32 v26, vcc, s4, v0
	v_addc_co_u32_e64 v27, s[0:1], 0, 0, vcc
	s_cselect_b32 s17, s15, 0
	s_cselect_b32 s16, s14, 0x10000
	s_lshl_b32 s0, s2, 4
	v_add_co_u32_e32 v12, vcc, s0, v2
	v_addc_co_u32_e64 v13, s[0:1], 0, 0, vcc
	v_add_co_u32_e32 v2, vcc, s18, v12
	v_addc_co_u32_e32 v11, vcc, v15, v13, vcc
	v_add_co_u32_e32 v12, vcc, s6, v12
	s_lshl_b32 s3, s2, 1
	v_addc_co_u32_e32 v13, vcc, v17, v13, vcc
	v_add_co_u32_e32 v28, vcc, s3, v0
	v_addc_co_u32_e64 v29, s[0:1], 0, 0, vcc
	v_add_co_u32_e32 v30, vcc, s2, v0
	v_lshlrev_b32_e32 v16, 3, v30
	v_addc_co_u32_e64 v31, s[0:1], 0, 0, vcc
	v_add_co_u32_e32 v14, vcc, s18, v16
	v_addc_co_u32_e32 v15, vcc, 0, v15, vcc
	v_add_co_u32_e32 v16, vcc, s6, v16
	s_mov_b32 s22, 0
	s_lshl_b32 s23, s2, 2
	s_lshl_b32 s24, s2, 5
	v_addc_co_u32_e32 v17, vcc, 0, v17, vcc
	s_mov_b64 s[18:19], 0
	s_branch .LBB15_9
.LBB15_8:                               ;   in Loop: Header=BB15_9 Depth=1
	s_or_b64 exec, exec, s[0:1]
	s_add_u32 s18, s18, s23
	s_addc_u32 s19, s19, 0
	v_pk_mov_b32 v[18:19], s[14:15], s[14:15] op_sel:[0,1]
	v_cmp_ge_i64_e32 vcc, s[18:19], v[18:19]
	v_mov_b32_e32 v18, 0xffff
	v_mov_b32_e32 v19, 0
	v_cmp_gt_u64_e64 s[0:1], s[18:19], v[18:19]
	s_or_b64 s[0:1], vcc, s[0:1]
	v_mov_b32_e32 v18, s22
	v_add_co_u32_e32 v4, vcc, s24, v4
	v_addc_co_u32_e32 v1, vcc, v1, v18, vcc
	v_add_co_u32_e32 v6, vcc, s24, v6
	v_addc_co_u32_e32 v5, vcc, v5, v18, vcc
	;; [unrolled: 2-line block ×8, first 2 shown]
	s_and_b64 vcc, exec, s[0:1]
	s_cbranch_vccnz .LBB15_25
.LBB15_9:                               ; =>This Inner Loop Header: Depth=1
	v_mov_b32_e32 v19, s19
	v_add_co_u32_e32 v18, vcc, s18, v0
	v_addc_co_u32_e32 v19, vcc, 0, v19, vcc
	v_cmp_gt_u64_e32 vcc, s[16:17], v[18:19]
	v_pk_mov_b32 v[18:19], 0, 0
	v_pk_mov_b32 v[22:23], v[18:19], v[18:19] op_sel:[0,1]
	s_and_saveexec_b64 s[2:3], vcc
	s_cbranch_execz .LBB15_11
; %bb.10:                               ;   in Loop: Header=BB15_9 Depth=1
	v_mov_b32_e32 v21, s13
	v_add_co_u32_e64 v20, s[0:1], s12, v4
	v_addc_co_u32_e64 v21, s[0:1], v1, v21, s[0:1]
	global_load_dwordx2 v[22:23], v[20:21], off
.LBB15_11:                              ;   in Loop: Header=BB15_9 Depth=1
	s_or_b64 exec, exec, s[2:3]
	v_mov_b32_e32 v21, s19
	v_add_co_u32_e64 v20, s[0:1], s18, v30
	v_addc_co_u32_e64 v21, s[0:1], v31, v21, s[0:1]
	v_cmp_gt_u64_e64 s[0:1], s[16:17], v[20:21]
	s_and_saveexec_b64 s[4:5], s[0:1]
	s_cbranch_execz .LBB15_13
; %bb.12:                               ;   in Loop: Header=BB15_9 Depth=1
	v_mov_b32_e32 v19, s13
	v_add_co_u32_e64 v18, s[2:3], s12, v14
	v_addc_co_u32_e64 v19, s[2:3], v15, v19, s[2:3]
	global_load_dwordx2 v[18:19], v[18:19], off
.LBB15_13:                              ;   in Loop: Header=BB15_9 Depth=1
	s_or_b64 exec, exec, s[4:5]
	v_mov_b32_e32 v21, s19
	v_add_co_u32_e64 v20, s[2:3], s18, v28
	v_addc_co_u32_e64 v21, s[2:3], v29, v21, s[2:3]
	v_cmp_gt_u64_e64 s[2:3], s[16:17], v[20:21]
	v_pk_mov_b32 v[20:21], 0, 0
	v_pk_mov_b32 v[24:25], v[20:21], v[20:21] op_sel:[0,1]
	s_and_saveexec_b64 s[6:7], s[2:3]
	s_cbranch_execz .LBB15_15
; %bb.14:                               ;   in Loop: Header=BB15_9 Depth=1
	v_mov_b32_e32 v25, s13
	v_add_co_u32_e64 v24, s[4:5], s12, v2
	v_addc_co_u32_e64 v25, s[4:5], v11, v25, s[4:5]
	global_load_dwordx2 v[24:25], v[24:25], off
.LBB15_15:                              ;   in Loop: Header=BB15_9 Depth=1
	s_or_b64 exec, exec, s[6:7]
	v_mov_b32_e32 v33, s19
	v_add_co_u32_e64 v32, s[4:5], s18, v26
	v_addc_co_u32_e64 v33, s[4:5], v27, v33, s[4:5]
	v_cmp_gt_u64_e64 s[4:5], s[16:17], v[32:33]
	s_and_saveexec_b64 s[20:21], s[4:5]
	s_cbranch_execz .LBB15_17
; %bb.16:                               ;   in Loop: Header=BB15_9 Depth=1
	v_mov_b32_e32 v21, s13
	v_add_co_u32_e64 v20, s[6:7], s12, v8
	v_addc_co_u32_e64 v21, s[6:7], v7, v21, s[6:7]
	global_load_dwordx2 v[20:21], v[20:21], off
.LBB15_17:                              ;   in Loop: Header=BB15_9 Depth=1
	s_or_b64 exec, exec, s[20:21]
	global_load_dwordx2 v[32:33], v3, s[8:9]
	s_waitcnt vmcnt(0)
	v_readfirstlane_b32 s20, v32
	s_mul_i32 s6, s20, s11
	s_mul_hi_u32 s7, s20, s10
	v_mul_lo_u32 v32, v33, s10
	s_add_i32 s7, s7, s6
	v_add_u32_e32 v32, s7, v32
	s_mul_i32 s20, s20, s10
	s_and_saveexec_b64 s[6:7], vcc
	s_cbranch_execnz .LBB15_21
; %bb.18:                               ;   in Loop: Header=BB15_9 Depth=1
	s_or_b64 exec, exec, s[6:7]
	s_and_saveexec_b64 s[6:7], s[0:1]
	s_cbranch_execnz .LBB15_22
.LBB15_19:                              ;   in Loop: Header=BB15_9 Depth=1
	s_or_b64 exec, exec, s[6:7]
	s_and_saveexec_b64 s[0:1], s[2:3]
	s_cbranch_execnz .LBB15_23
.LBB15_20:                              ;   in Loop: Header=BB15_9 Depth=1
	s_or_b64 exec, exec, s[0:1]
	s_and_saveexec_b64 s[0:1], s[4:5]
	s_cbranch_execz .LBB15_8
	s_branch .LBB15_24
.LBB15_21:                              ;   in Loop: Header=BB15_9 Depth=1
	v_mov_b32_e32 v33, s13
	v_add_co_u32_e32 v34, vcc, s12, v6
	v_addc_co_u32_e32 v35, vcc, v5, v33, vcc
	v_add_co_u32_e32 v22, vcc, s20, v22
	v_addc_co_u32_e32 v23, vcc, v32, v23, vcc
	global_store_dwordx2 v[34:35], v[22:23], off
	s_or_b64 exec, exec, s[6:7]
	s_and_saveexec_b64 s[6:7], s[0:1]
	s_cbranch_execz .LBB15_19
.LBB15_22:                              ;   in Loop: Header=BB15_9 Depth=1
	v_add_co_u32_e32 v18, vcc, s20, v18
	v_addc_co_u32_e32 v19, vcc, v32, v19, vcc
	v_mov_b32_e32 v23, s13
	v_add_co_u32_e32 v22, vcc, s12, v16
	v_addc_co_u32_e32 v23, vcc, v17, v23, vcc
	global_store_dwordx2 v[22:23], v[18:19], off
	s_or_b64 exec, exec, s[6:7]
	s_and_saveexec_b64 s[0:1], s[2:3]
	s_cbranch_execz .LBB15_20
.LBB15_23:                              ;   in Loop: Header=BB15_9 Depth=1
	v_add_co_u32_e32 v18, vcc, s20, v24
	v_addc_co_u32_e32 v19, vcc, v32, v25, vcc
	v_mov_b32_e32 v23, s13
	v_add_co_u32_e32 v22, vcc, s12, v12
	v_addc_co_u32_e32 v23, vcc, v13, v23, vcc
	global_store_dwordx2 v[22:23], v[18:19], off
	s_or_b64 exec, exec, s[0:1]
	s_and_saveexec_b64 s[0:1], s[4:5]
	s_cbranch_execz .LBB15_8
.LBB15_24:                              ;   in Loop: Header=BB15_9 Depth=1
	v_add_co_u32_e32 v18, vcc, s20, v20
	v_addc_co_u32_e32 v19, vcc, v32, v21, vcc
	v_mov_b32_e32 v21, s13
	v_add_co_u32_e32 v20, vcc, s12, v10
	v_addc_co_u32_e32 v21, vcc, v9, v21, vcc
	global_store_dwordx2 v[20:21], v[18:19], off
	s_branch .LBB15_8
.LBB15_25:
	s_endpgm
	.section	.rodata,"a",@progbits
	.p2align	6, 0x0
	.amdhsa_kernel _ZN2at6native12_GLOBAL__N_125multi_tensor_apply_kernelINS1_18TensorListMetadataILi2EEENS1_27BinaryOpScalarTensorFunctorIlLi2ELi1ELi1EEEJSt4plusIlEPllEEEvT_T0_DpT1_
		.amdhsa_group_segment_fixed_size 0
		.amdhsa_private_segment_fixed_size 0
		.amdhsa_kernarg_size 3424
		.amdhsa_user_sgpr_count 6
		.amdhsa_user_sgpr_private_segment_buffer 1
		.amdhsa_user_sgpr_dispatch_ptr 0
		.amdhsa_user_sgpr_queue_ptr 0
		.amdhsa_user_sgpr_kernarg_segment_ptr 1
		.amdhsa_user_sgpr_dispatch_id 0
		.amdhsa_user_sgpr_flat_scratch_init 0
		.amdhsa_user_sgpr_kernarg_preload_length 0
		.amdhsa_user_sgpr_kernarg_preload_offset 0
		.amdhsa_user_sgpr_private_segment_size 0
		.amdhsa_uses_dynamic_stack 0
		.amdhsa_system_sgpr_private_segment_wavefront_offset 0
		.amdhsa_system_sgpr_workgroup_id_x 1
		.amdhsa_system_sgpr_workgroup_id_y 0
		.amdhsa_system_sgpr_workgroup_id_z 0
		.amdhsa_system_sgpr_workgroup_info 0
		.amdhsa_system_vgpr_workitem_id 0
		.amdhsa_next_free_vgpr 36
		.amdhsa_next_free_sgpr 30
		.amdhsa_accum_offset 36
		.amdhsa_reserve_vcc 1
		.amdhsa_reserve_flat_scratch 0
		.amdhsa_float_round_mode_32 0
		.amdhsa_float_round_mode_16_64 0
		.amdhsa_float_denorm_mode_32 3
		.amdhsa_float_denorm_mode_16_64 3
		.amdhsa_dx10_clamp 1
		.amdhsa_ieee_mode 1
		.amdhsa_fp16_overflow 0
		.amdhsa_tg_split 0
		.amdhsa_exception_fp_ieee_invalid_op 0
		.amdhsa_exception_fp_denorm_src 0
		.amdhsa_exception_fp_ieee_div_zero 0
		.amdhsa_exception_fp_ieee_overflow 0
		.amdhsa_exception_fp_ieee_underflow 0
		.amdhsa_exception_fp_ieee_inexact 0
		.amdhsa_exception_int_div_zero 0
	.end_amdhsa_kernel
	.section	.text._ZN2at6native12_GLOBAL__N_125multi_tensor_apply_kernelINS1_18TensorListMetadataILi2EEENS1_27BinaryOpScalarTensorFunctorIlLi2ELi1ELi1EEEJSt4plusIlEPllEEEvT_T0_DpT1_,"axG",@progbits,_ZN2at6native12_GLOBAL__N_125multi_tensor_apply_kernelINS1_18TensorListMetadataILi2EEENS1_27BinaryOpScalarTensorFunctorIlLi2ELi1ELi1EEEJSt4plusIlEPllEEEvT_T0_DpT1_,comdat
.Lfunc_end15:
	.size	_ZN2at6native12_GLOBAL__N_125multi_tensor_apply_kernelINS1_18TensorListMetadataILi2EEENS1_27BinaryOpScalarTensorFunctorIlLi2ELi1ELi1EEEJSt4plusIlEPllEEEvT_T0_DpT1_, .Lfunc_end15-_ZN2at6native12_GLOBAL__N_125multi_tensor_apply_kernelINS1_18TensorListMetadataILi2EEENS1_27BinaryOpScalarTensorFunctorIlLi2ELi1ELi1EEEJSt4plusIlEPllEEEvT_T0_DpT1_
                                        ; -- End function
	.section	.AMDGPU.csdata,"",@progbits
; Kernel info:
; codeLenInByte = 1392
; NumSgprs: 34
; NumVgprs: 36
; NumAgprs: 0
; TotalNumVgprs: 36
; ScratchSize: 0
; MemoryBound: 0
; FloatMode: 240
; IeeeMode: 1
; LDSByteSize: 0 bytes/workgroup (compile time only)
; SGPRBlocks: 4
; VGPRBlocks: 4
; NumSGPRsForWavesPerEU: 34
; NumVGPRsForWavesPerEU: 36
; AccumOffset: 36
; Occupancy: 8
; WaveLimiterHint : 0
; COMPUTE_PGM_RSRC2:SCRATCH_EN: 0
; COMPUTE_PGM_RSRC2:USER_SGPR: 6
; COMPUTE_PGM_RSRC2:TRAP_HANDLER: 0
; COMPUTE_PGM_RSRC2:TGID_X_EN: 1
; COMPUTE_PGM_RSRC2:TGID_Y_EN: 0
; COMPUTE_PGM_RSRC2:TGID_Z_EN: 0
; COMPUTE_PGM_RSRC2:TIDIG_COMP_CNT: 0
; COMPUTE_PGM_RSRC3_GFX90A:ACCUM_OFFSET: 8
; COMPUTE_PGM_RSRC3_GFX90A:TG_SPLIT: 0
	.section	.text._ZN2at6native12_GLOBAL__N_125multi_tensor_apply_kernelINS1_18TensorListMetadataILi2EEENS1_27BinaryOpScalarTensorFunctorIsLi2ELi1ELi1EEEJSt4plusIsEPssEEEvT_T0_DpT1_,"axG",@progbits,_ZN2at6native12_GLOBAL__N_125multi_tensor_apply_kernelINS1_18TensorListMetadataILi2EEENS1_27BinaryOpScalarTensorFunctorIsLi2ELi1ELi1EEEJSt4plusIsEPssEEEvT_T0_DpT1_,comdat
	.globl	_ZN2at6native12_GLOBAL__N_125multi_tensor_apply_kernelINS1_18TensorListMetadataILi2EEENS1_27BinaryOpScalarTensorFunctorIsLi2ELi1ELi1EEEJSt4plusIsEPssEEEvT_T0_DpT1_ ; -- Begin function _ZN2at6native12_GLOBAL__N_125multi_tensor_apply_kernelINS1_18TensorListMetadataILi2EEENS1_27BinaryOpScalarTensorFunctorIsLi2ELi1ELi1EEEJSt4plusIsEPssEEEvT_T0_DpT1_
	.p2align	8
	.type	_ZN2at6native12_GLOBAL__N_125multi_tensor_apply_kernelINS1_18TensorListMetadataILi2EEENS1_27BinaryOpScalarTensorFunctorIsLi2ELi1ELi1EEEJSt4plusIsEPssEEEvT_T0_DpT1_,@function
_ZN2at6native12_GLOBAL__N_125multi_tensor_apply_kernelINS1_18TensorListMetadataILi2EEENS1_27BinaryOpScalarTensorFunctorIsLi2ELi1ELi1EEEJSt4plusIsEPssEEEvT_T0_DpT1_: ; @_ZN2at6native12_GLOBAL__N_125multi_tensor_apply_kernelINS1_18TensorListMetadataILi2EEENS1_27BinaryOpScalarTensorFunctorIsLi2ELi1ELi1EEEJSt4plusIsEPssEEEvT_T0_DpT1_
; %bb.0:
	v_mov_b32_e32 v1, s6
	global_load_ubyte v1, v1, s[4:5] offset:1536
	s_load_dword s22, s[4:5], 0xc58
	s_add_u32 s0, s4, s6
	s_mul_hi_u32 s2, s6, 3
	s_mul_i32 s6, s6, 3
	s_addc_u32 s7, s5, 0
	s_add_u32 s6, s0, s6
	s_addc_u32 s7, s7, s2
	s_load_dword s12, s[6:7], 0x740
	s_mov_b32 s1, 0
	s_mov_b32 s19, s1
	s_mov_b32 s3, s1
	s_waitcnt lgkmcnt(0)
	s_ashr_i32 s13, s12, 31
	s_lshl_b64 s[10:11], s[12:13], 17
	s_lshl_b64 s[12:13], s[12:13], 16
	s_waitcnt vmcnt(0)
	v_readfirstlane_b32 s0, v1
	s_lshl_b32 s0, s0, 3
	s_load_dwordx2 s[16:17], s[4:5], s0 offset:0x0
	s_load_dwordx2 s[8:9], s[4:5], 0xc50
	s_load_dwordx2 s[14:15], s[4:5], s0 offset:0x400
	s_load_dwordx2 s[6:7], s[4:5], s0 offset:0x200
	s_waitcnt lgkmcnt(0)
	s_and_b32 s0, s16, 7
	s_and_b32 s18, s14, 3
	;; [unrolled: 1-line block ×3, first 2 shown]
	s_or_b64 s[18:19], s[0:1], s[18:19]
	s_or_b64 s[2:3], s[2:3], s[18:19]
	s_sub_u32 s12, s14, s12
	s_subb_u32 s13, s15, s13
	s_cmp_eq_u64 s[2:3], 0
	s_mov_b64 s[2:3], -1
	s_cbranch_scc0 .LBB16_5
; %bb.1:
	v_mov_b32_e32 v3, 0
	v_lshlrev_b32_e32 v2, 2, v0
	v_cmp_gt_i64_e32 vcc, s[12:13], v[2:3]
	s_and_saveexec_b64 s[14:15], vcc
	s_cbranch_execz .LBB16_4
; %bb.2:
	s_load_dword s0, s[4:5], 0xc6c
	v_lshlrev_b32_e32 v1, 3, v0
	v_mov_b32_e32 v2, s11
	v_add_co_u32_e32 v4, vcc, s10, v1
	s_waitcnt lgkmcnt(0)
	s_and_b32 s0, s0, 0xffff
	v_addc_co_u32_e32 v1, vcc, 0, v2, vcc
	v_add_lshl_u32 v2, v0, s0, 2
	s_and_b32 s23, 0xffff, s22
	s_lshl_b32 s24, s0, 3
	s_lshl_b32 s25, s0, 2
	s_mov_b64 s[18:19], 0
	v_mov_b32_e32 v5, s17
	v_mov_b32_e32 v8, s7
	s_mov_b64 s[20:21], 0xffff
	v_mov_b32_e32 v9, s1
	v_mov_b32_e32 v10, s1
	v_pk_mov_b32 v[6:7], v[2:3], v[2:3] op_sel:[0,1]
.LBB16_3:                               ; =>This Inner Loop Header: Depth=1
	v_add_co_u32_e32 v12, vcc, s16, v4
	v_addc_co_u32_e32 v13, vcc, v5, v1, vcc
	global_load_ushort v2, v3, s[8:9]
	global_load_dwordx2 v[14:15], v[12:13], off
	v_add_co_u32_e32 v12, vcc, s6, v4
	v_addc_co_u32_e32 v13, vcc, v8, v1, vcc
	v_cmp_le_i64_e32 vcc, s[12:13], v[6:7]
	v_cmp_lt_u64_e64 s[0:1], s[20:21], v[6:7]
	v_add_co_u32_e64 v4, s[2:3], s24, v4
	v_addc_co_u32_e64 v1, s[2:3], v1, v9, s[2:3]
	s_or_b64 s[0:1], vcc, s[0:1]
	v_add_co_u32_e64 v6, s[2:3], s25, v6
	s_and_b64 s[0:1], exec, s[0:1]
	v_addc_co_u32_e64 v7, s[2:3], v7, v10, s[2:3]
	s_or_b64 s[18:19], s[0:1], s[18:19]
	s_waitcnt vmcnt(1)
	v_mul_lo_u32 v2, v2, s23
	s_waitcnt vmcnt(0)
	v_add_u16_sdwa v11, v2, v14 dst_sel:WORD_1 dst_unused:UNUSED_PAD src0_sel:DWORD src1_sel:WORD_1
	v_add_u16_sdwa v16, v2, v15 dst_sel:WORD_1 dst_unused:UNUSED_PAD src0_sel:DWORD src1_sel:WORD_1
	v_add_u16_e32 v15, v2, v15
	v_add_u16_e32 v2, v2, v14
	v_or_b32_e32 v15, v16, v15
	v_or_b32_e32 v14, v11, v2
	global_store_dwordx2 v[12:13], v[14:15], off
	s_andn2_b64 exec, exec, s[18:19]
	s_cbranch_execnz .LBB16_3
.LBB16_4:
	s_or_b64 exec, exec, s[14:15]
	s_mov_b64 s[2:3], 0
.LBB16_5:
	s_andn2_b64 vcc, exec, s[2:3]
	s_cbranch_vccnz .LBB16_25
; %bb.6:
	v_cmp_lt_i64_e64 s[0:1], s[12:13], 1
	s_and_b64 vcc, exec, s[0:1]
	s_cbranch_vccnz .LBB16_25
; %bb.7:
	s_load_dword s0, s[4:5], 0xc6c
	v_mov_b32_e32 v4, 0x10000
	v_mov_b32_e32 v5, 0
	v_cmp_lt_u64_e32 vcc, s[12:13], v[4:5]
	v_lshlrev_b32_e32 v2, 1, v0
	s_waitcnt lgkmcnt(0)
	s_and_b32 s2, s0, 0xffff
	s_and_b64 s[0:1], vcc, exec
	v_mov_b32_e32 v15, s17
	v_add_co_u32_e32 v4, vcc, s16, v2
	v_addc_co_u32_e32 v1, vcc, 0, v15, vcc
	v_mov_b32_e32 v3, 0
	v_mov_b32_e32 v17, s7
	v_add_co_u32_e32 v6, vcc, s6, v2
	v_addc_co_u32_e32 v5, vcc, 0, v17, vcc
	v_mad_u64_u32 v[10:11], s[0:1], s2, 6, v[2:3]
	v_add_co_u32_e32 v8, vcc, s16, v10
	v_addc_co_u32_e32 v7, vcc, v15, v11, vcc
	v_add_co_u32_e32 v10, vcc, s6, v10
	s_mul_i32 s4, s2, 3
	v_addc_co_u32_e32 v9, vcc, v17, v11, vcc
	s_cselect_b32 s15, s13, 0
	s_cselect_b32 s14, s12, 0x10000
	s_lshl_b32 s21, s2, 2
	v_add_co_u32_e32 v18, vcc, s4, v0
	v_addc_co_u32_e64 v19, s[0:1], 0, 0, vcc
	v_add_co_u32_e32 v12, vcc, s21, v2
	v_addc_co_u32_e64 v13, s[0:1], 0, 0, vcc
	v_add_co_u32_e32 v2, vcc, s16, v12
	v_addc_co_u32_e32 v11, vcc, v15, v13, vcc
	v_add_co_u32_e32 v12, vcc, s6, v12
	s_lshl_b32 s3, s2, 1
	v_addc_co_u32_e32 v13, vcc, v17, v13, vcc
	v_add_co_u32_e32 v20, vcc, s3, v0
	v_addc_co_u32_e64 v21, s[0:1], 0, 0, vcc
	v_add_co_u32_e32 v22, vcc, s2, v0
	v_lshlrev_b32_e32 v16, 1, v22
	v_addc_co_u32_e64 v23, s[0:1], 0, 0, vcc
	v_add_co_u32_e32 v14, vcc, s16, v16
	v_addc_co_u32_e32 v15, vcc, 0, v15, vcc
	v_add_co_u32_e32 v16, vcc, s6, v16
	s_mov_b32 s20, 0
	s_and_b32 s22, 0xffff, s22
	s_lshl_b32 s23, s2, 3
	v_addc_co_u32_e32 v17, vcc, 0, v17, vcc
	s_mov_b64 s[16:17], 0
	s_branch .LBB16_9
.LBB16_8:                               ;   in Loop: Header=BB16_9 Depth=1
	s_or_b64 exec, exec, s[0:1]
	s_add_u32 s16, s16, s21
	s_addc_u32 s17, s17, 0
	v_pk_mov_b32 v[24:25], s[12:13], s[12:13] op_sel:[0,1]
	v_cmp_ge_i64_e32 vcc, s[16:17], v[24:25]
	v_mov_b32_e32 v24, 0xffff
	v_mov_b32_e32 v25, 0
	v_cmp_gt_u64_e64 s[0:1], s[16:17], v[24:25]
	s_or_b64 s[0:1], vcc, s[0:1]
	v_mov_b32_e32 v24, s20
	v_add_co_u32_e32 v4, vcc, s23, v4
	v_addc_co_u32_e32 v1, vcc, v1, v24, vcc
	v_add_co_u32_e32 v6, vcc, s23, v6
	v_addc_co_u32_e32 v5, vcc, v5, v24, vcc
	;; [unrolled: 2-line block ×8, first 2 shown]
	s_and_b64 vcc, exec, s[0:1]
	s_cbranch_vccnz .LBB16_25
.LBB16_9:                               ; =>This Inner Loop Header: Depth=1
	v_mov_b32_e32 v25, s17
	v_add_co_u32_e32 v24, vcc, s16, v0
	v_addc_co_u32_e32 v25, vcc, 0, v25, vcc
	v_cmp_gt_u64_e32 vcc, s[14:15], v[24:25]
	v_mov_b32_e32 v25, 0
	s_and_saveexec_b64 s[2:3], vcc
	s_cbranch_execz .LBB16_11
; %bb.10:                               ;   in Loop: Header=BB16_9 Depth=1
	v_mov_b32_e32 v25, s11
	v_add_co_u32_e64 v24, s[0:1], s10, v4
	v_addc_co_u32_e64 v25, s[0:1], v1, v25, s[0:1]
	global_load_ushort v25, v[24:25], off
.LBB16_11:                              ;   in Loop: Header=BB16_9 Depth=1
	s_or_b64 exec, exec, s[2:3]
	v_mov_b32_e32 v24, s17
	v_add_co_u32_e64 v26, s[0:1], s16, v22
	v_addc_co_u32_e64 v27, s[0:1], v23, v24, s[0:1]
	v_cmp_gt_u64_e64 s[0:1], s[14:15], v[26:27]
	v_mov_b32_e32 v24, 0
	v_mov_b32_e32 v26, 0
	s_and_saveexec_b64 s[4:5], s[0:1]
	s_cbranch_execz .LBB16_13
; %bb.12:                               ;   in Loop: Header=BB16_9 Depth=1
	v_mov_b32_e32 v27, s11
	v_add_co_u32_e64 v26, s[2:3], s10, v14
	v_addc_co_u32_e64 v27, s[2:3], v15, v27, s[2:3]
	global_load_ushort v26, v[26:27], off
.LBB16_13:                              ;   in Loop: Header=BB16_9 Depth=1
	s_or_b64 exec, exec, s[4:5]
	v_mov_b32_e32 v27, s17
	v_add_co_u32_e64 v28, s[2:3], s16, v20
	v_addc_co_u32_e64 v29, s[2:3], v21, v27, s[2:3]
	v_cmp_gt_u64_e64 s[2:3], s[14:15], v[28:29]
	s_and_saveexec_b64 s[6:7], s[2:3]
	s_cbranch_execz .LBB16_15
; %bb.14:                               ;   in Loop: Header=BB16_9 Depth=1
	v_mov_b32_e32 v24, s11
	v_add_co_u32_e64 v28, s[4:5], s10, v2
	v_addc_co_u32_e64 v29, s[4:5], v11, v24, s[4:5]
	global_load_ushort v24, v[28:29], off
.LBB16_15:                              ;   in Loop: Header=BB16_9 Depth=1
	s_or_b64 exec, exec, s[6:7]
	v_mov_b32_e32 v27, s17
	v_add_co_u32_e64 v28, s[4:5], s16, v18
	v_addc_co_u32_e64 v29, s[4:5], v19, v27, s[4:5]
	v_cmp_gt_u64_e64 s[4:5], s[14:15], v[28:29]
	v_mov_b32_e32 v27, 0
	s_and_saveexec_b64 s[18:19], s[4:5]
	s_cbranch_execz .LBB16_17
; %bb.16:                               ;   in Loop: Header=BB16_9 Depth=1
	v_mov_b32_e32 v27, s11
	v_add_co_u32_e64 v28, s[6:7], s10, v8
	v_addc_co_u32_e64 v29, s[6:7], v7, v27, s[6:7]
	global_load_ushort v27, v[28:29], off
.LBB16_17:                              ;   in Loop: Header=BB16_9 Depth=1
	s_or_b64 exec, exec, s[18:19]
	global_load_ushort v28, v3, s[8:9]
	s_waitcnt vmcnt(0)
	v_mul_lo_u32 v28, v28, s22
	s_and_saveexec_b64 s[6:7], vcc
	s_cbranch_execnz .LBB16_21
; %bb.18:                               ;   in Loop: Header=BB16_9 Depth=1
	s_or_b64 exec, exec, s[6:7]
	s_and_saveexec_b64 s[6:7], s[0:1]
	s_cbranch_execnz .LBB16_22
.LBB16_19:                              ;   in Loop: Header=BB16_9 Depth=1
	s_or_b64 exec, exec, s[6:7]
	s_and_saveexec_b64 s[0:1], s[2:3]
	s_cbranch_execnz .LBB16_23
.LBB16_20:                              ;   in Loop: Header=BB16_9 Depth=1
	s_or_b64 exec, exec, s[0:1]
	s_and_saveexec_b64 s[0:1], s[4:5]
	s_cbranch_execz .LBB16_8
	s_branch .LBB16_24
.LBB16_21:                              ;   in Loop: Header=BB16_9 Depth=1
	v_mov_b32_e32 v29, s11
	v_add_co_u32_e32 v30, vcc, s10, v6
	v_addc_co_u32_e32 v31, vcc, v5, v29, vcc
	v_add_u16_e32 v25, v28, v25
	global_store_short v[30:31], v25, off
	s_or_b64 exec, exec, s[6:7]
	s_and_saveexec_b64 s[6:7], s[0:1]
	s_cbranch_execz .LBB16_19
.LBB16_22:                              ;   in Loop: Header=BB16_9 Depth=1
	v_add_u16_e32 v25, v28, v26
	v_mov_b32_e32 v26, s11
	v_add_co_u32_e32 v30, vcc, s10, v16
	v_addc_co_u32_e32 v31, vcc, v17, v26, vcc
	global_store_short v[30:31], v25, off
	s_or_b64 exec, exec, s[6:7]
	s_and_saveexec_b64 s[0:1], s[2:3]
	s_cbranch_execz .LBB16_20
.LBB16_23:                              ;   in Loop: Header=BB16_9 Depth=1
	v_add_u16_e32 v26, v28, v24
	v_mov_b32_e32 v25, s11
	v_add_co_u32_e32 v24, vcc, s10, v12
	v_addc_co_u32_e32 v25, vcc, v13, v25, vcc
	global_store_short v[24:25], v26, off
	s_or_b64 exec, exec, s[0:1]
	s_and_saveexec_b64 s[0:1], s[4:5]
	s_cbranch_execz .LBB16_8
.LBB16_24:                              ;   in Loop: Header=BB16_9 Depth=1
	v_mov_b32_e32 v25, s11
	v_add_co_u32_e32 v24, vcc, s10, v10
	v_add_u16_e32 v26, v28, v27
	v_addc_co_u32_e32 v25, vcc, v9, v25, vcc
	global_store_short v[24:25], v26, off
	s_branch .LBB16_8
.LBB16_25:
	s_endpgm
	.section	.rodata,"a",@progbits
	.p2align	6, 0x0
	.amdhsa_kernel _ZN2at6native12_GLOBAL__N_125multi_tensor_apply_kernelINS1_18TensorListMetadataILi2EEENS1_27BinaryOpScalarTensorFunctorIsLi2ELi1ELi1EEEJSt4plusIsEPssEEEvT_T0_DpT1_
		.amdhsa_group_segment_fixed_size 0
		.amdhsa_private_segment_fixed_size 0
		.amdhsa_kernarg_size 3424
		.amdhsa_user_sgpr_count 6
		.amdhsa_user_sgpr_private_segment_buffer 1
		.amdhsa_user_sgpr_dispatch_ptr 0
		.amdhsa_user_sgpr_queue_ptr 0
		.amdhsa_user_sgpr_kernarg_segment_ptr 1
		.amdhsa_user_sgpr_dispatch_id 0
		.amdhsa_user_sgpr_flat_scratch_init 0
		.amdhsa_user_sgpr_kernarg_preload_length 0
		.amdhsa_user_sgpr_kernarg_preload_offset 0
		.amdhsa_user_sgpr_private_segment_size 0
		.amdhsa_uses_dynamic_stack 0
		.amdhsa_system_sgpr_private_segment_wavefront_offset 0
		.amdhsa_system_sgpr_workgroup_id_x 1
		.amdhsa_system_sgpr_workgroup_id_y 0
		.amdhsa_system_sgpr_workgroup_id_z 0
		.amdhsa_system_sgpr_workgroup_info 0
		.amdhsa_system_vgpr_workitem_id 0
		.amdhsa_next_free_vgpr 32
		.amdhsa_next_free_sgpr 26
		.amdhsa_accum_offset 32
		.amdhsa_reserve_vcc 1
		.amdhsa_reserve_flat_scratch 0
		.amdhsa_float_round_mode_32 0
		.amdhsa_float_round_mode_16_64 0
		.amdhsa_float_denorm_mode_32 3
		.amdhsa_float_denorm_mode_16_64 3
		.amdhsa_dx10_clamp 1
		.amdhsa_ieee_mode 1
		.amdhsa_fp16_overflow 0
		.amdhsa_tg_split 0
		.amdhsa_exception_fp_ieee_invalid_op 0
		.amdhsa_exception_fp_denorm_src 0
		.amdhsa_exception_fp_ieee_div_zero 0
		.amdhsa_exception_fp_ieee_overflow 0
		.amdhsa_exception_fp_ieee_underflow 0
		.amdhsa_exception_fp_ieee_inexact 0
		.amdhsa_exception_int_div_zero 0
	.end_amdhsa_kernel
	.section	.text._ZN2at6native12_GLOBAL__N_125multi_tensor_apply_kernelINS1_18TensorListMetadataILi2EEENS1_27BinaryOpScalarTensorFunctorIsLi2ELi1ELi1EEEJSt4plusIsEPssEEEvT_T0_DpT1_,"axG",@progbits,_ZN2at6native12_GLOBAL__N_125multi_tensor_apply_kernelINS1_18TensorListMetadataILi2EEENS1_27BinaryOpScalarTensorFunctorIsLi2ELi1ELi1EEEJSt4plusIsEPssEEEvT_T0_DpT1_,comdat
.Lfunc_end16:
	.size	_ZN2at6native12_GLOBAL__N_125multi_tensor_apply_kernelINS1_18TensorListMetadataILi2EEENS1_27BinaryOpScalarTensorFunctorIsLi2ELi1ELi1EEEJSt4plusIsEPssEEEvT_T0_DpT1_, .Lfunc_end16-_ZN2at6native12_GLOBAL__N_125multi_tensor_apply_kernelINS1_18TensorListMetadataILi2EEENS1_27BinaryOpScalarTensorFunctorIsLi2ELi1ELi1EEEJSt4plusIsEPssEEEvT_T0_DpT1_
                                        ; -- End function
	.section	.AMDGPU.csdata,"",@progbits
; Kernel info:
; codeLenInByte = 1304
; NumSgprs: 30
; NumVgprs: 32
; NumAgprs: 0
; TotalNumVgprs: 32
; ScratchSize: 0
; MemoryBound: 0
; FloatMode: 240
; IeeeMode: 1
; LDSByteSize: 0 bytes/workgroup (compile time only)
; SGPRBlocks: 3
; VGPRBlocks: 3
; NumSGPRsForWavesPerEU: 30
; NumVGPRsForWavesPerEU: 32
; AccumOffset: 32
; Occupancy: 8
; WaveLimiterHint : 0
; COMPUTE_PGM_RSRC2:SCRATCH_EN: 0
; COMPUTE_PGM_RSRC2:USER_SGPR: 6
; COMPUTE_PGM_RSRC2:TRAP_HANDLER: 0
; COMPUTE_PGM_RSRC2:TGID_X_EN: 1
; COMPUTE_PGM_RSRC2:TGID_Y_EN: 0
; COMPUTE_PGM_RSRC2:TGID_Z_EN: 0
; COMPUTE_PGM_RSRC2:TIDIG_COMP_CNT: 0
; COMPUTE_PGM_RSRC3_GFX90A:ACCUM_OFFSET: 7
; COMPUTE_PGM_RSRC3_GFX90A:TG_SPLIT: 0
	.section	.text._ZN2at6native12_GLOBAL__N_125multi_tensor_apply_kernelINS1_18TensorListMetadataILi2EEENS1_27BinaryOpScalarTensorFunctorIdLi2ELi1ELi1EEEJSt4plusIdEPddEEEvT_T0_DpT1_,"axG",@progbits,_ZN2at6native12_GLOBAL__N_125multi_tensor_apply_kernelINS1_18TensorListMetadataILi2EEENS1_27BinaryOpScalarTensorFunctorIdLi2ELi1ELi1EEEJSt4plusIdEPddEEEvT_T0_DpT1_,comdat
	.globl	_ZN2at6native12_GLOBAL__N_125multi_tensor_apply_kernelINS1_18TensorListMetadataILi2EEENS1_27BinaryOpScalarTensorFunctorIdLi2ELi1ELi1EEEJSt4plusIdEPddEEEvT_T0_DpT1_ ; -- Begin function _ZN2at6native12_GLOBAL__N_125multi_tensor_apply_kernelINS1_18TensorListMetadataILi2EEENS1_27BinaryOpScalarTensorFunctorIdLi2ELi1ELi1EEEJSt4plusIdEPddEEEvT_T0_DpT1_
	.p2align	8
	.type	_ZN2at6native12_GLOBAL__N_125multi_tensor_apply_kernelINS1_18TensorListMetadataILi2EEENS1_27BinaryOpScalarTensorFunctorIdLi2ELi1ELi1EEEJSt4plusIdEPddEEEvT_T0_DpT1_,@function
_ZN2at6native12_GLOBAL__N_125multi_tensor_apply_kernelINS1_18TensorListMetadataILi2EEENS1_27BinaryOpScalarTensorFunctorIdLi2ELi1ELi1EEEJSt4plusIdEPddEEEvT_T0_DpT1_: ; @_ZN2at6native12_GLOBAL__N_125multi_tensor_apply_kernelINS1_18TensorListMetadataILi2EEENS1_27BinaryOpScalarTensorFunctorIdLi2ELi1ELi1EEEJSt4plusIdEPddEEEvT_T0_DpT1_
; %bb.0:
	v_mov_b32_e32 v1, s6
	global_load_ubyte v1, v1, s[4:5] offset:1536
	s_load_dwordx4 s[8:11], s[4:5], 0xc50
	s_add_u32 s0, s4, s6
	s_mul_hi_u32 s2, s6, 3
	s_mul_i32 s6, s6, 3
	s_addc_u32 s7, s5, 0
	s_add_u32 s6, s0, s6
	s_addc_u32 s7, s7, s2
	s_load_dword s14, s[6:7], 0x740
	s_mov_b32 s1, 0
	s_mov_b32 s17, s1
	;; [unrolled: 1-line block ×3, first 2 shown]
	s_waitcnt vmcnt(0)
	v_readfirstlane_b32 s0, v1
	s_lshl_b32 s0, s0, 3
	s_load_dwordx2 s[18:19], s[4:5], s0 offset:0x0
	s_load_dwordx2 s[20:21], s[4:5], s0 offset:0x400
	s_load_dwordx2 s[6:7], s[4:5], s0 offset:0x200
	s_waitcnt lgkmcnt(0)
	s_ashr_i32 s15, s14, 31
	s_lshl_b64 s[12:13], s[14:15], 19
	s_add_u32 s24, s18, s12
	s_addc_u32 s25, s19, s13
	s_and_b32 s0, s24, 31
	s_add_u32 s26, s6, s12
	s_addc_u32 s27, s7, s13
	s_and_b32 s16, s20, 3
	s_and_b32 s2, s26, 31
	s_or_b64 s[16:17], s[0:1], s[16:17]
	s_or_b64 s[2:3], s[2:3], s[16:17]
	s_lshl_b64 s[14:15], s[14:15], 16
	s_sub_u32 s14, s20, s14
	s_subb_u32 s15, s21, s15
	s_cmp_eq_u64 s[2:3], 0
	s_mov_b64 s[2:3], -1
	s_cbranch_scc0 .LBB17_5
; %bb.1:
	v_mov_b32_e32 v3, 0
	v_lshlrev_b32_e32 v2, 2, v0
	v_cmp_gt_i64_e32 vcc, s[14:15], v[2:3]
	s_and_saveexec_b64 s[16:17], vcc
	s_cbranch_execz .LBB17_4
; %bb.2:
	s_load_dword s0, s[4:5], 0xc6c
	v_lshlrev_b32_e32 v4, 5, v0
	s_mov_b64 s[20:21], 0
	s_mov_b64 s[22:23], 0xffff
	v_mov_b32_e32 v1, s1
	s_waitcnt lgkmcnt(0)
	s_and_b32 s0, s0, 0xffff
	v_add_lshl_u32 v2, v0, s0, 2
	s_lshl_b32 s28, s0, 2
	s_lshl_b32 s29, s0, 5
	v_pk_mov_b32 v[6:7], v[2:3], v[2:3] op_sel:[0,1]
.LBB17_3:                               ; =>This Inner Loop Header: Depth=1
	v_mov_b32_e32 v2, s25
	v_add_co_u32_e32 v18, vcc, s24, v4
	global_load_dwordx2 v[16:17], v3, s[8:9]
	v_addc_co_u32_e32 v19, vcc, 0, v2, vcc
	global_load_dwordx4 v[8:11], v[18:19], off
	global_load_dwordx4 v[12:15], v[18:19], off offset:16
	v_cmp_le_i64_e32 vcc, s[14:15], v[6:7]
	v_cmp_lt_u64_e64 s[0:1], s[22:23], v[6:7]
	s_or_b64 s[0:1], vcc, s[0:1]
	v_add_co_u32_e64 v6, s[2:3], s28, v6
	s_add_u32 s24, s24, s29
	v_addc_co_u32_e64 v7, s[2:3], v7, v1, s[2:3]
	s_addc_u32 s25, s25, 0
	v_add_co_u32_e64 v18, s[2:3], s26, v4
	s_add_u32 s26, s26, s29
	v_mov_b32_e32 v2, s27
	s_addc_u32 s27, s27, 0
	s_and_b64 s[0:1], exec, s[0:1]
	v_addc_co_u32_e64 v19, s[2:3], 0, v2, s[2:3]
	s_or_b64 s[20:21], s[0:1], s[20:21]
	s_waitcnt vmcnt(1)
	v_fmac_f64_e32 v[8:9], s[10:11], v[16:17]
	v_fmac_f64_e32 v[10:11], s[10:11], v[16:17]
	s_waitcnt vmcnt(0)
	v_fmac_f64_e32 v[12:13], s[10:11], v[16:17]
	v_fmac_f64_e32 v[14:15], s[10:11], v[16:17]
	global_store_dwordx4 v[18:19], v[8:11], off
	global_store_dwordx4 v[18:19], v[12:15], off offset:16
	s_andn2_b64 exec, exec, s[20:21]
	s_cbranch_execnz .LBB17_3
.LBB17_4:
	s_or_b64 exec, exec, s[16:17]
	s_mov_b64 s[2:3], 0
.LBB17_5:
	s_andn2_b64 vcc, exec, s[2:3]
	s_cbranch_vccnz .LBB17_25
; %bb.6:
	v_cmp_lt_i64_e64 s[0:1], s[14:15], 1
	s_and_b64 vcc, exec, s[0:1]
	s_cbranch_vccnz .LBB17_25
; %bb.7:
	s_load_dword s0, s[4:5], 0xc6c
	v_mov_b32_e32 v4, 0x10000
	v_mov_b32_e32 v5, 0
	v_cmp_lt_u64_e32 vcc, s[14:15], v[4:5]
	v_lshlrev_b32_e32 v2, 3, v0
	s_waitcnt lgkmcnt(0)
	s_and_b32 s2, s0, 0xffff
	s_and_b64 s[0:1], vcc, exec
	v_mov_b32_e32 v15, s19
	v_add_co_u32_e32 v4, vcc, s18, v2
	v_addc_co_u32_e32 v1, vcc, 0, v15, vcc
	v_mov_b32_e32 v3, 0
	v_mov_b32_e32 v17, s7
	v_add_co_u32_e32 v6, vcc, s6, v2
	v_addc_co_u32_e32 v5, vcc, 0, v17, vcc
	v_mad_u64_u32 v[10:11], s[0:1], s2, 24, v[2:3]
	v_add_co_u32_e32 v8, vcc, s18, v10
	v_addc_co_u32_e32 v7, vcc, v15, v11, vcc
	v_add_co_u32_e32 v10, vcc, s6, v10
	s_mul_i32 s4, s2, 3
	v_addc_co_u32_e32 v9, vcc, v17, v11, vcc
	v_add_co_u32_e32 v28, vcc, s4, v0
	v_addc_co_u32_e64 v29, s[0:1], 0, 0, vcc
	s_cselect_b32 s17, s15, 0
	s_cselect_b32 s16, s14, 0x10000
	s_lshl_b32 s0, s2, 4
	v_add_co_u32_e32 v12, vcc, s0, v2
	v_addc_co_u32_e64 v13, s[0:1], 0, 0, vcc
	v_add_co_u32_e32 v2, vcc, s18, v12
	v_addc_co_u32_e32 v11, vcc, v15, v13, vcc
	v_add_co_u32_e32 v12, vcc, s6, v12
	s_lshl_b32 s3, s2, 1
	v_addc_co_u32_e32 v13, vcc, v17, v13, vcc
	v_add_co_u32_e32 v30, vcc, s3, v0
	v_addc_co_u32_e64 v31, s[0:1], 0, 0, vcc
	v_add_co_u32_e32 v32, vcc, s2, v0
	v_lshlrev_b32_e32 v16, 3, v32
	v_addc_co_u32_e64 v33, s[0:1], 0, 0, vcc
	v_add_co_u32_e32 v14, vcc, s18, v16
	v_addc_co_u32_e32 v15, vcc, 0, v15, vcc
	v_add_co_u32_e32 v16, vcc, s6, v16
	s_mov_b32 s22, 0
	s_lshl_b32 s23, s2, 2
	s_lshl_b32 s24, s2, 5
	v_addc_co_u32_e32 v17, vcc, 0, v17, vcc
	s_mov_b64 s[18:19], 0
	s_branch .LBB17_9
.LBB17_8:                               ;   in Loop: Header=BB17_9 Depth=1
	s_or_b64 exec, exec, s[0:1]
	s_add_u32 s18, s18, s23
	s_addc_u32 s19, s19, 0
	v_pk_mov_b32 v[18:19], s[14:15], s[14:15] op_sel:[0,1]
	v_cmp_ge_i64_e32 vcc, s[18:19], v[18:19]
	v_mov_b32_e32 v18, 0xffff
	v_mov_b32_e32 v19, 0
	v_cmp_gt_u64_e64 s[0:1], s[18:19], v[18:19]
	s_or_b64 s[0:1], vcc, s[0:1]
	v_mov_b32_e32 v18, s22
	v_add_co_u32_e32 v4, vcc, s24, v4
	v_addc_co_u32_e32 v1, vcc, v1, v18, vcc
	v_add_co_u32_e32 v6, vcc, s24, v6
	v_addc_co_u32_e32 v5, vcc, v5, v18, vcc
	;; [unrolled: 2-line block ×8, first 2 shown]
	s_and_b64 vcc, exec, s[0:1]
	s_cbranch_vccnz .LBB17_25
.LBB17_9:                               ; =>This Inner Loop Header: Depth=1
	v_mov_b32_e32 v19, s19
	v_add_co_u32_e32 v18, vcc, s18, v0
	v_addc_co_u32_e32 v19, vcc, 0, v19, vcc
	v_cmp_gt_u64_e32 vcc, s[16:17], v[18:19]
	v_pk_mov_b32 v[18:19], 0, 0
	v_pk_mov_b32 v[20:21], v[18:19], v[18:19] op_sel:[0,1]
	s_and_saveexec_b64 s[2:3], vcc
	s_cbranch_execz .LBB17_11
; %bb.10:                               ;   in Loop: Header=BB17_9 Depth=1
	v_mov_b32_e32 v21, s13
	v_add_co_u32_e64 v20, s[0:1], s12, v4
	v_addc_co_u32_e64 v21, s[0:1], v1, v21, s[0:1]
	global_load_dwordx2 v[20:21], v[20:21], off
.LBB17_11:                              ;   in Loop: Header=BB17_9 Depth=1
	s_or_b64 exec, exec, s[2:3]
	v_mov_b32_e32 v23, s19
	v_add_co_u32_e64 v22, s[0:1], s18, v32
	v_addc_co_u32_e64 v23, s[0:1], v33, v23, s[0:1]
	v_cmp_gt_u64_e64 s[0:1], s[16:17], v[22:23]
	s_and_saveexec_b64 s[4:5], s[0:1]
	s_cbranch_execz .LBB17_13
; %bb.12:                               ;   in Loop: Header=BB17_9 Depth=1
	v_mov_b32_e32 v19, s13
	v_add_co_u32_e64 v18, s[2:3], s12, v14
	v_addc_co_u32_e64 v19, s[2:3], v15, v19, s[2:3]
	global_load_dwordx2 v[18:19], v[18:19], off
.LBB17_13:                              ;   in Loop: Header=BB17_9 Depth=1
	s_or_b64 exec, exec, s[4:5]
	v_mov_b32_e32 v23, s19
	v_add_co_u32_e64 v22, s[2:3], s18, v30
	v_addc_co_u32_e64 v23, s[2:3], v31, v23, s[2:3]
	v_cmp_gt_u64_e64 s[2:3], s[16:17], v[22:23]
	v_pk_mov_b32 v[22:23], 0, 0
	v_pk_mov_b32 v[24:25], v[22:23], v[22:23] op_sel:[0,1]
	s_and_saveexec_b64 s[6:7], s[2:3]
	s_cbranch_execz .LBB17_15
; %bb.14:                               ;   in Loop: Header=BB17_9 Depth=1
	v_mov_b32_e32 v25, s13
	v_add_co_u32_e64 v24, s[4:5], s12, v2
	v_addc_co_u32_e64 v25, s[4:5], v11, v25, s[4:5]
	global_load_dwordx2 v[24:25], v[24:25], off
.LBB17_15:                              ;   in Loop: Header=BB17_9 Depth=1
	s_or_b64 exec, exec, s[6:7]
	v_mov_b32_e32 v27, s19
	v_add_co_u32_e64 v26, s[4:5], s18, v28
	v_addc_co_u32_e64 v27, s[4:5], v29, v27, s[4:5]
	v_cmp_gt_u64_e64 s[4:5], s[16:17], v[26:27]
	s_and_saveexec_b64 s[20:21], s[4:5]
	s_cbranch_execz .LBB17_17
; %bb.16:                               ;   in Loop: Header=BB17_9 Depth=1
	v_mov_b32_e32 v23, s13
	v_add_co_u32_e64 v22, s[6:7], s12, v8
	v_addc_co_u32_e64 v23, s[6:7], v7, v23, s[6:7]
	global_load_dwordx2 v[22:23], v[22:23], off
.LBB17_17:                              ;   in Loop: Header=BB17_9 Depth=1
	s_or_b64 exec, exec, s[20:21]
	global_load_dwordx2 v[26:27], v3, s[8:9]
	s_waitcnt vmcnt(0)
	v_mul_f64 v[26:27], v[26:27], s[10:11]
	s_and_saveexec_b64 s[6:7], vcc
	s_cbranch_execnz .LBB17_21
; %bb.18:                               ;   in Loop: Header=BB17_9 Depth=1
	s_or_b64 exec, exec, s[6:7]
	s_and_saveexec_b64 s[6:7], s[0:1]
	s_cbranch_execnz .LBB17_22
.LBB17_19:                              ;   in Loop: Header=BB17_9 Depth=1
	s_or_b64 exec, exec, s[6:7]
	s_and_saveexec_b64 s[0:1], s[2:3]
	s_cbranch_execnz .LBB17_23
.LBB17_20:                              ;   in Loop: Header=BB17_9 Depth=1
	s_or_b64 exec, exec, s[0:1]
	s_and_saveexec_b64 s[0:1], s[4:5]
	s_cbranch_execz .LBB17_8
	s_branch .LBB17_24
.LBB17_21:                              ;   in Loop: Header=BB17_9 Depth=1
	v_mov_b32_e32 v35, s13
	v_add_co_u32_e32 v34, vcc, s12, v6
	v_addc_co_u32_e32 v35, vcc, v5, v35, vcc
	v_add_f64 v[20:21], v[20:21], v[26:27]
	global_store_dwordx2 v[34:35], v[20:21], off
	s_or_b64 exec, exec, s[6:7]
	s_and_saveexec_b64 s[6:7], s[0:1]
	s_cbranch_execz .LBB17_19
.LBB17_22:                              ;   in Loop: Header=BB17_9 Depth=1
	v_mov_b32_e32 v21, s13
	v_add_co_u32_e32 v20, vcc, s12, v16
	v_add_f64 v[18:19], v[18:19], v[26:27]
	v_addc_co_u32_e32 v21, vcc, v17, v21, vcc
	global_store_dwordx2 v[20:21], v[18:19], off
	s_or_b64 exec, exec, s[6:7]
	s_and_saveexec_b64 s[0:1], s[2:3]
	s_cbranch_execz .LBB17_20
.LBB17_23:                              ;   in Loop: Header=BB17_9 Depth=1
	v_mov_b32_e32 v21, s13
	v_add_co_u32_e32 v20, vcc, s12, v12
	v_add_f64 v[18:19], v[24:25], v[26:27]
	v_addc_co_u32_e32 v21, vcc, v13, v21, vcc
	global_store_dwordx2 v[20:21], v[18:19], off
	s_or_b64 exec, exec, s[0:1]
	s_and_saveexec_b64 s[0:1], s[4:5]
	s_cbranch_execz .LBB17_8
.LBB17_24:                              ;   in Loop: Header=BB17_9 Depth=1
	v_mov_b32_e32 v21, s13
	v_add_co_u32_e32 v20, vcc, s12, v10
	v_add_f64 v[18:19], v[22:23], v[26:27]
	v_addc_co_u32_e32 v21, vcc, v9, v21, vcc
	global_store_dwordx2 v[20:21], v[18:19], off
	s_branch .LBB17_8
.LBB17_25:
	s_endpgm
	.section	.rodata,"a",@progbits
	.p2align	6, 0x0
	.amdhsa_kernel _ZN2at6native12_GLOBAL__N_125multi_tensor_apply_kernelINS1_18TensorListMetadataILi2EEENS1_27BinaryOpScalarTensorFunctorIdLi2ELi1ELi1EEEJSt4plusIdEPddEEEvT_T0_DpT1_
		.amdhsa_group_segment_fixed_size 0
		.amdhsa_private_segment_fixed_size 0
		.amdhsa_kernarg_size 3424
		.amdhsa_user_sgpr_count 6
		.amdhsa_user_sgpr_private_segment_buffer 1
		.amdhsa_user_sgpr_dispatch_ptr 0
		.amdhsa_user_sgpr_queue_ptr 0
		.amdhsa_user_sgpr_kernarg_segment_ptr 1
		.amdhsa_user_sgpr_dispatch_id 0
		.amdhsa_user_sgpr_flat_scratch_init 0
		.amdhsa_user_sgpr_kernarg_preload_length 0
		.amdhsa_user_sgpr_kernarg_preload_offset 0
		.amdhsa_user_sgpr_private_segment_size 0
		.amdhsa_uses_dynamic_stack 0
		.amdhsa_system_sgpr_private_segment_wavefront_offset 0
		.amdhsa_system_sgpr_workgroup_id_x 1
		.amdhsa_system_sgpr_workgroup_id_y 0
		.amdhsa_system_sgpr_workgroup_id_z 0
		.amdhsa_system_sgpr_workgroup_info 0
		.amdhsa_system_vgpr_workitem_id 0
		.amdhsa_next_free_vgpr 36
		.amdhsa_next_free_sgpr 30
		.amdhsa_accum_offset 36
		.amdhsa_reserve_vcc 1
		.amdhsa_reserve_flat_scratch 0
		.amdhsa_float_round_mode_32 0
		.amdhsa_float_round_mode_16_64 0
		.amdhsa_float_denorm_mode_32 3
		.amdhsa_float_denorm_mode_16_64 3
		.amdhsa_dx10_clamp 1
		.amdhsa_ieee_mode 1
		.amdhsa_fp16_overflow 0
		.amdhsa_tg_split 0
		.amdhsa_exception_fp_ieee_invalid_op 0
		.amdhsa_exception_fp_denorm_src 0
		.amdhsa_exception_fp_ieee_div_zero 0
		.amdhsa_exception_fp_ieee_overflow 0
		.amdhsa_exception_fp_ieee_underflow 0
		.amdhsa_exception_fp_ieee_inexact 0
		.amdhsa_exception_int_div_zero 0
	.end_amdhsa_kernel
	.section	.text._ZN2at6native12_GLOBAL__N_125multi_tensor_apply_kernelINS1_18TensorListMetadataILi2EEENS1_27BinaryOpScalarTensorFunctorIdLi2ELi1ELi1EEEJSt4plusIdEPddEEEvT_T0_DpT1_,"axG",@progbits,_ZN2at6native12_GLOBAL__N_125multi_tensor_apply_kernelINS1_18TensorListMetadataILi2EEENS1_27BinaryOpScalarTensorFunctorIdLi2ELi1ELi1EEEJSt4plusIdEPddEEEvT_T0_DpT1_,comdat
.Lfunc_end17:
	.size	_ZN2at6native12_GLOBAL__N_125multi_tensor_apply_kernelINS1_18TensorListMetadataILi2EEENS1_27BinaryOpScalarTensorFunctorIdLi2ELi1ELi1EEEJSt4plusIdEPddEEEvT_T0_DpT1_, .Lfunc_end17-_ZN2at6native12_GLOBAL__N_125multi_tensor_apply_kernelINS1_18TensorListMetadataILi2EEENS1_27BinaryOpScalarTensorFunctorIdLi2ELi1ELi1EEEJSt4plusIdEPddEEEvT_T0_DpT1_
                                        ; -- End function
	.section	.AMDGPU.csdata,"",@progbits
; Kernel info:
; codeLenInByte = 1312
; NumSgprs: 34
; NumVgprs: 36
; NumAgprs: 0
; TotalNumVgprs: 36
; ScratchSize: 0
; MemoryBound: 0
; FloatMode: 240
; IeeeMode: 1
; LDSByteSize: 0 bytes/workgroup (compile time only)
; SGPRBlocks: 4
; VGPRBlocks: 4
; NumSGPRsForWavesPerEU: 34
; NumVGPRsForWavesPerEU: 36
; AccumOffset: 36
; Occupancy: 8
; WaveLimiterHint : 0
; COMPUTE_PGM_RSRC2:SCRATCH_EN: 0
; COMPUTE_PGM_RSRC2:USER_SGPR: 6
; COMPUTE_PGM_RSRC2:TRAP_HANDLER: 0
; COMPUTE_PGM_RSRC2:TGID_X_EN: 1
; COMPUTE_PGM_RSRC2:TGID_Y_EN: 0
; COMPUTE_PGM_RSRC2:TGID_Z_EN: 0
; COMPUTE_PGM_RSRC2:TIDIG_COMP_CNT: 0
; COMPUTE_PGM_RSRC3_GFX90A:ACCUM_OFFSET: 8
; COMPUTE_PGM_RSRC3_GFX90A:TG_SPLIT: 0
	.section	.text._ZN2at6native12_GLOBAL__N_125multi_tensor_apply_kernelINS1_18TensorListMetadataILi2EEENS1_27BinaryOpScalarTensorFunctorIfLi2ELi1ELi1EEEJSt4plusIfEPffEEEvT_T0_DpT1_,"axG",@progbits,_ZN2at6native12_GLOBAL__N_125multi_tensor_apply_kernelINS1_18TensorListMetadataILi2EEENS1_27BinaryOpScalarTensorFunctorIfLi2ELi1ELi1EEEJSt4plusIfEPffEEEvT_T0_DpT1_,comdat
	.globl	_ZN2at6native12_GLOBAL__N_125multi_tensor_apply_kernelINS1_18TensorListMetadataILi2EEENS1_27BinaryOpScalarTensorFunctorIfLi2ELi1ELi1EEEJSt4plusIfEPffEEEvT_T0_DpT1_ ; -- Begin function _ZN2at6native12_GLOBAL__N_125multi_tensor_apply_kernelINS1_18TensorListMetadataILi2EEENS1_27BinaryOpScalarTensorFunctorIfLi2ELi1ELi1EEEJSt4plusIfEPffEEEvT_T0_DpT1_
	.p2align	8
	.type	_ZN2at6native12_GLOBAL__N_125multi_tensor_apply_kernelINS1_18TensorListMetadataILi2EEENS1_27BinaryOpScalarTensorFunctorIfLi2ELi1ELi1EEEJSt4plusIfEPffEEEvT_T0_DpT1_,@function
_ZN2at6native12_GLOBAL__N_125multi_tensor_apply_kernelINS1_18TensorListMetadataILi2EEENS1_27BinaryOpScalarTensorFunctorIfLi2ELi1ELi1EEEJSt4plusIfEPffEEEvT_T0_DpT1_: ; @_ZN2at6native12_GLOBAL__N_125multi_tensor_apply_kernelINS1_18TensorListMetadataILi2EEENS1_27BinaryOpScalarTensorFunctorIfLi2ELi1ELi1EEEJSt4plusIfEPffEEEvT_T0_DpT1_
; %bb.0:
	v_mov_b32_e32 v1, s6
	global_load_ubyte v1, v1, s[4:5] offset:1536
	s_load_dword s22, s[4:5], 0xc58
	s_add_u32 s0, s4, s6
	s_mul_hi_u32 s2, s6, 3
	s_mul_i32 s6, s6, 3
	s_addc_u32 s7, s5, 0
	s_add_u32 s6, s0, s6
	s_addc_u32 s7, s7, s2
	s_load_dword s12, s[6:7], 0x740
	s_mov_b32 s1, 0
	s_mov_b32 s19, s1
	;; [unrolled: 1-line block ×3, first 2 shown]
	s_waitcnt lgkmcnt(0)
	s_ashr_i32 s13, s12, 31
	s_lshl_b64 s[10:11], s[12:13], 18
	s_lshl_b64 s[12:13], s[12:13], 16
	s_waitcnt vmcnt(0)
	v_readfirstlane_b32 s0, v1
	s_lshl_b32 s0, s0, 3
	s_load_dwordx2 s[16:17], s[4:5], s0 offset:0x0
	s_load_dwordx2 s[8:9], s[4:5], 0xc50
	s_load_dwordx2 s[14:15], s[4:5], s0 offset:0x400
	s_load_dwordx2 s[6:7], s[4:5], s0 offset:0x200
	s_waitcnt lgkmcnt(0)
	s_and_b32 s0, s16, 15
	s_and_b32 s18, s14, 3
	;; [unrolled: 1-line block ×3, first 2 shown]
	s_or_b64 s[18:19], s[0:1], s[18:19]
	s_or_b64 s[2:3], s[2:3], s[18:19]
	s_sub_u32 s12, s14, s12
	s_subb_u32 s13, s15, s13
	s_cmp_eq_u64 s[2:3], 0
	s_mov_b64 s[2:3], -1
	s_cbranch_scc0 .LBB18_5
; %bb.1:
	v_mov_b32_e32 v3, 0
	v_lshlrev_b32_e32 v2, 2, v0
	v_cmp_gt_i64_e32 vcc, s[12:13], v[2:3]
	s_and_saveexec_b64 s[14:15], vcc
	s_cbranch_execz .LBB18_4
; %bb.2:
	s_load_dword s0, s[4:5], 0xc6c
	v_lshlrev_b32_e32 v1, 4, v0
	v_mov_b32_e32 v4, s11
	v_add_co_u32_e32 v1, vcc, s10, v1
	s_waitcnt lgkmcnt(0)
	s_and_b32 s0, s0, 0xffff
	v_addc_co_u32_e32 v5, vcc, 0, v4, vcc
	v_add_lshl_u32 v2, v0, s0, 2
	v_add_co_u32_e32 v4, vcc, 8, v1
	s_lshl_b32 s23, s0, 2
	v_addc_co_u32_e32 v1, vcc, 0, v5, vcc
	s_lshl_b32 s24, s0, 4
	s_mov_b64 s[18:19], 0
	v_mov_b32_e32 v5, s17
	v_mov_b32_e32 v8, s7
	s_mov_b64 s[20:21], 0xffff
	v_mov_b32_e32 v9, s1
	v_mov_b32_e32 v10, s1
	v_pk_mov_b32 v[6:7], v[2:3], v[2:3] op_sel:[0,1]
.LBB18_3:                               ; =>This Inner Loop Header: Depth=1
	v_add_co_u32_e32 v16, vcc, s16, v4
	v_addc_co_u32_e32 v17, vcc, v5, v1, vcc
	global_load_dword v2, v3, s[8:9]
	global_load_dwordx4 v[12:15], v[16:17], off offset:-8
	v_add_co_u32_e32 v16, vcc, s6, v4
	v_addc_co_u32_e32 v17, vcc, v8, v1, vcc
	v_cmp_le_i64_e32 vcc, s[12:13], v[6:7]
	v_cmp_lt_u64_e64 s[0:1], s[20:21], v[6:7]
	v_add_co_u32_e64 v6, s[2:3], s23, v6
	v_addc_co_u32_e64 v7, s[2:3], v7, v9, s[2:3]
	s_or_b64 s[0:1], vcc, s[0:1]
	v_add_co_u32_e64 v4, s[2:3], s24, v4
	s_and_b64 s[0:1], exec, s[0:1]
	v_addc_co_u32_e64 v1, s[2:3], v1, v10, s[2:3]
	s_or_b64 s[18:19], s[0:1], s[18:19]
	s_waitcnt vmcnt(1)
	v_mul_f32_e32 v2, s22, v2
	s_waitcnt vmcnt(0)
	v_pk_add_f32 v[12:13], v[12:13], v[2:3] op_sel_hi:[1,0]
	v_pk_add_f32 v[14:15], v[14:15], v[2:3] op_sel_hi:[1,0]
	global_store_dwordx4 v[16:17], v[12:15], off offset:-8
	s_andn2_b64 exec, exec, s[18:19]
	s_cbranch_execnz .LBB18_3
.LBB18_4:
	s_or_b64 exec, exec, s[14:15]
	s_mov_b64 s[2:3], 0
.LBB18_5:
	s_andn2_b64 vcc, exec, s[2:3]
	s_cbranch_vccnz .LBB18_25
; %bb.6:
	v_cmp_lt_i64_e64 s[0:1], s[12:13], 1
	s_and_b64 vcc, exec, s[0:1]
	s_cbranch_vccnz .LBB18_25
; %bb.7:
	s_load_dword s0, s[4:5], 0xc6c
	v_mov_b32_e32 v4, 0x10000
	v_mov_b32_e32 v5, 0
	v_cmp_lt_u64_e32 vcc, s[12:13], v[4:5]
	v_lshlrev_b32_e32 v2, 2, v0
	s_waitcnt lgkmcnt(0)
	s_and_b32 s2, s0, 0xffff
	s_and_b64 s[0:1], vcc, exec
	v_mov_b32_e32 v15, s17
	v_add_co_u32_e32 v4, vcc, s16, v2
	v_addc_co_u32_e32 v1, vcc, 0, v15, vcc
	v_mov_b32_e32 v3, 0
	v_mov_b32_e32 v17, s7
	v_add_co_u32_e32 v6, vcc, s6, v2
	v_addc_co_u32_e32 v5, vcc, 0, v17, vcc
	v_mad_u64_u32 v[10:11], s[0:1], s2, 12, v[2:3]
	v_add_co_u32_e32 v8, vcc, s16, v10
	v_addc_co_u32_e32 v7, vcc, v15, v11, vcc
	v_add_co_u32_e32 v10, vcc, s6, v10
	s_mul_i32 s4, s2, 3
	v_addc_co_u32_e32 v9, vcc, v17, v11, vcc
	v_add_co_u32_e32 v18, vcc, s4, v0
	v_addc_co_u32_e64 v19, s[0:1], 0, 0, vcc
	s_cselect_b32 s15, s13, 0
	s_cselect_b32 s14, s12, 0x10000
	s_lshl_b32 s0, s2, 3
	v_add_co_u32_e32 v12, vcc, s0, v2
	v_addc_co_u32_e64 v13, s[0:1], 0, 0, vcc
	v_add_co_u32_e32 v2, vcc, s16, v12
	v_addc_co_u32_e32 v11, vcc, v15, v13, vcc
	v_add_co_u32_e32 v12, vcc, s6, v12
	s_lshl_b32 s3, s2, 1
	v_addc_co_u32_e32 v13, vcc, v17, v13, vcc
	v_add_co_u32_e32 v20, vcc, s3, v0
	v_addc_co_u32_e64 v21, s[0:1], 0, 0, vcc
	v_add_co_u32_e32 v22, vcc, s2, v0
	v_lshlrev_b32_e32 v16, 2, v22
	v_addc_co_u32_e64 v23, s[0:1], 0, 0, vcc
	v_add_co_u32_e32 v14, vcc, s16, v16
	v_addc_co_u32_e32 v15, vcc, 0, v15, vcc
	v_add_co_u32_e32 v16, vcc, s6, v16
	s_mov_b32 s20, 0
	s_lshl_b32 s21, s2, 2
	s_lshl_b32 s23, s2, 4
	v_addc_co_u32_e32 v17, vcc, 0, v17, vcc
	s_mov_b64 s[16:17], 0
	s_branch .LBB18_9
.LBB18_8:                               ;   in Loop: Header=BB18_9 Depth=1
	s_or_b64 exec, exec, s[0:1]
	s_add_u32 s16, s16, s21
	s_addc_u32 s17, s17, 0
	v_pk_mov_b32 v[24:25], s[12:13], s[12:13] op_sel:[0,1]
	v_cmp_ge_i64_e32 vcc, s[16:17], v[24:25]
	v_mov_b32_e32 v24, 0xffff
	v_mov_b32_e32 v25, 0
	v_cmp_gt_u64_e64 s[0:1], s[16:17], v[24:25]
	s_or_b64 s[0:1], vcc, s[0:1]
	v_mov_b32_e32 v24, s20
	v_add_co_u32_e32 v4, vcc, s23, v4
	v_addc_co_u32_e32 v1, vcc, v1, v24, vcc
	v_add_co_u32_e32 v6, vcc, s23, v6
	v_addc_co_u32_e32 v5, vcc, v5, v24, vcc
	v_add_co_u32_e32 v8, vcc, s23, v8
	v_addc_co_u32_e32 v7, vcc, v7, v24, vcc
	v_add_co_u32_e32 v10, vcc, s23, v10
	v_addc_co_u32_e32 v9, vcc, v9, v24, vcc
	v_add_co_u32_e32 v2, vcc, s23, v2
	v_addc_co_u32_e32 v11, vcc, v11, v24, vcc
	v_add_co_u32_e32 v12, vcc, s23, v12
	v_addc_co_u32_e32 v13, vcc, v13, v24, vcc
	v_add_co_u32_e32 v14, vcc, s23, v14
	v_addc_co_u32_e32 v15, vcc, v15, v24, vcc
	v_add_co_u32_e32 v16, vcc, s23, v16
	v_addc_co_u32_e32 v17, vcc, v17, v24, vcc
	s_and_b64 vcc, exec, s[0:1]
	s_cbranch_vccnz .LBB18_25
.LBB18_9:                               ; =>This Inner Loop Header: Depth=1
	v_mov_b32_e32 v25, s17
	v_add_co_u32_e32 v24, vcc, s16, v0
	v_addc_co_u32_e32 v25, vcc, 0, v25, vcc
	v_cmp_gt_u64_e32 vcc, s[14:15], v[24:25]
	v_mov_b32_e32 v25, 0
	s_and_saveexec_b64 s[2:3], vcc
	s_cbranch_execz .LBB18_11
; %bb.10:                               ;   in Loop: Header=BB18_9 Depth=1
	v_mov_b32_e32 v25, s11
	v_add_co_u32_e64 v24, s[0:1], s10, v4
	v_addc_co_u32_e64 v25, s[0:1], v1, v25, s[0:1]
	global_load_dword v25, v[24:25], off
.LBB18_11:                              ;   in Loop: Header=BB18_9 Depth=1
	s_or_b64 exec, exec, s[2:3]
	v_mov_b32_e32 v24, s17
	v_add_co_u32_e64 v26, s[0:1], s16, v22
	v_addc_co_u32_e64 v27, s[0:1], v23, v24, s[0:1]
	v_cmp_gt_u64_e64 s[0:1], s[14:15], v[26:27]
	v_mov_b32_e32 v24, 0
	v_mov_b32_e32 v26, 0
	s_and_saveexec_b64 s[4:5], s[0:1]
	s_cbranch_execz .LBB18_13
; %bb.12:                               ;   in Loop: Header=BB18_9 Depth=1
	v_mov_b32_e32 v27, s11
	v_add_co_u32_e64 v26, s[2:3], s10, v14
	v_addc_co_u32_e64 v27, s[2:3], v15, v27, s[2:3]
	global_load_dword v26, v[26:27], off
.LBB18_13:                              ;   in Loop: Header=BB18_9 Depth=1
	s_or_b64 exec, exec, s[4:5]
	v_mov_b32_e32 v27, s17
	v_add_co_u32_e64 v28, s[2:3], s16, v20
	v_addc_co_u32_e64 v29, s[2:3], v21, v27, s[2:3]
	v_cmp_gt_u64_e64 s[2:3], s[14:15], v[28:29]
	s_and_saveexec_b64 s[6:7], s[2:3]
	s_cbranch_execz .LBB18_15
; %bb.14:                               ;   in Loop: Header=BB18_9 Depth=1
	v_mov_b32_e32 v24, s11
	v_add_co_u32_e64 v28, s[4:5], s10, v2
	v_addc_co_u32_e64 v29, s[4:5], v11, v24, s[4:5]
	global_load_dword v24, v[28:29], off
.LBB18_15:                              ;   in Loop: Header=BB18_9 Depth=1
	s_or_b64 exec, exec, s[6:7]
	v_mov_b32_e32 v27, s17
	v_add_co_u32_e64 v28, s[4:5], s16, v18
	v_addc_co_u32_e64 v29, s[4:5], v19, v27, s[4:5]
	v_cmp_gt_u64_e64 s[4:5], s[14:15], v[28:29]
	v_mov_b32_e32 v27, 0
	s_and_saveexec_b64 s[18:19], s[4:5]
	s_cbranch_execz .LBB18_17
; %bb.16:                               ;   in Loop: Header=BB18_9 Depth=1
	v_mov_b32_e32 v27, s11
	v_add_co_u32_e64 v28, s[6:7], s10, v8
	v_addc_co_u32_e64 v29, s[6:7], v7, v27, s[6:7]
	global_load_dword v27, v[28:29], off
.LBB18_17:                              ;   in Loop: Header=BB18_9 Depth=1
	s_or_b64 exec, exec, s[18:19]
	global_load_dword v28, v3, s[8:9]
	s_waitcnt vmcnt(0)
	v_mul_f32_e32 v28, s22, v28
	s_and_saveexec_b64 s[6:7], vcc
	s_cbranch_execnz .LBB18_21
; %bb.18:                               ;   in Loop: Header=BB18_9 Depth=1
	s_or_b64 exec, exec, s[6:7]
	s_and_saveexec_b64 s[6:7], s[0:1]
	s_cbranch_execnz .LBB18_22
.LBB18_19:                              ;   in Loop: Header=BB18_9 Depth=1
	s_or_b64 exec, exec, s[6:7]
	s_and_saveexec_b64 s[0:1], s[2:3]
	s_cbranch_execnz .LBB18_23
.LBB18_20:                              ;   in Loop: Header=BB18_9 Depth=1
	s_or_b64 exec, exec, s[0:1]
	s_and_saveexec_b64 s[0:1], s[4:5]
	s_cbranch_execz .LBB18_8
	s_branch .LBB18_24
.LBB18_21:                              ;   in Loop: Header=BB18_9 Depth=1
	v_mov_b32_e32 v29, s11
	v_add_co_u32_e32 v30, vcc, s10, v6
	v_addc_co_u32_e32 v31, vcc, v5, v29, vcc
	v_add_f32_e32 v25, v25, v28
	global_store_dword v[30:31], v25, off
	s_or_b64 exec, exec, s[6:7]
	s_and_saveexec_b64 s[6:7], s[0:1]
	s_cbranch_execz .LBB18_19
.LBB18_22:                              ;   in Loop: Header=BB18_9 Depth=1
	v_add_f32_e32 v25, v26, v28
	v_mov_b32_e32 v26, s11
	v_add_co_u32_e32 v30, vcc, s10, v16
	v_addc_co_u32_e32 v31, vcc, v17, v26, vcc
	global_store_dword v[30:31], v25, off
	s_or_b64 exec, exec, s[6:7]
	s_and_saveexec_b64 s[0:1], s[2:3]
	s_cbranch_execz .LBB18_20
.LBB18_23:                              ;   in Loop: Header=BB18_9 Depth=1
	v_add_f32_e32 v26, v24, v28
	v_mov_b32_e32 v25, s11
	v_add_co_u32_e32 v24, vcc, s10, v12
	v_addc_co_u32_e32 v25, vcc, v13, v25, vcc
	global_store_dword v[24:25], v26, off
	s_or_b64 exec, exec, s[0:1]
	s_and_saveexec_b64 s[0:1], s[4:5]
	s_cbranch_execz .LBB18_8
.LBB18_24:                              ;   in Loop: Header=BB18_9 Depth=1
	v_mov_b32_e32 v25, s11
	v_add_co_u32_e32 v24, vcc, s10, v10
	v_add_f32_e32 v26, v27, v28
	v_addc_co_u32_e32 v25, vcc, v9, v25, vcc
	global_store_dword v[24:25], v26, off
	s_branch .LBB18_8
.LBB18_25:
	s_endpgm
	.section	.rodata,"a",@progbits
	.p2align	6, 0x0
	.amdhsa_kernel _ZN2at6native12_GLOBAL__N_125multi_tensor_apply_kernelINS1_18TensorListMetadataILi2EEENS1_27BinaryOpScalarTensorFunctorIfLi2ELi1ELi1EEEJSt4plusIfEPffEEEvT_T0_DpT1_
		.amdhsa_group_segment_fixed_size 0
		.amdhsa_private_segment_fixed_size 0
		.amdhsa_kernarg_size 3424
		.amdhsa_user_sgpr_count 6
		.amdhsa_user_sgpr_private_segment_buffer 1
		.amdhsa_user_sgpr_dispatch_ptr 0
		.amdhsa_user_sgpr_queue_ptr 0
		.amdhsa_user_sgpr_kernarg_segment_ptr 1
		.amdhsa_user_sgpr_dispatch_id 0
		.amdhsa_user_sgpr_flat_scratch_init 0
		.amdhsa_user_sgpr_kernarg_preload_length 0
		.amdhsa_user_sgpr_kernarg_preload_offset 0
		.amdhsa_user_sgpr_private_segment_size 0
		.amdhsa_uses_dynamic_stack 0
		.amdhsa_system_sgpr_private_segment_wavefront_offset 0
		.amdhsa_system_sgpr_workgroup_id_x 1
		.amdhsa_system_sgpr_workgroup_id_y 0
		.amdhsa_system_sgpr_workgroup_id_z 0
		.amdhsa_system_sgpr_workgroup_info 0
		.amdhsa_system_vgpr_workitem_id 0
		.amdhsa_next_free_vgpr 32
		.amdhsa_next_free_sgpr 25
		.amdhsa_accum_offset 32
		.amdhsa_reserve_vcc 1
		.amdhsa_reserve_flat_scratch 0
		.amdhsa_float_round_mode_32 0
		.amdhsa_float_round_mode_16_64 0
		.amdhsa_float_denorm_mode_32 3
		.amdhsa_float_denorm_mode_16_64 3
		.amdhsa_dx10_clamp 1
		.amdhsa_ieee_mode 1
		.amdhsa_fp16_overflow 0
		.amdhsa_tg_split 0
		.amdhsa_exception_fp_ieee_invalid_op 0
		.amdhsa_exception_fp_denorm_src 0
		.amdhsa_exception_fp_ieee_div_zero 0
		.amdhsa_exception_fp_ieee_overflow 0
		.amdhsa_exception_fp_ieee_underflow 0
		.amdhsa_exception_fp_ieee_inexact 0
		.amdhsa_exception_int_div_zero 0
	.end_amdhsa_kernel
	.section	.text._ZN2at6native12_GLOBAL__N_125multi_tensor_apply_kernelINS1_18TensorListMetadataILi2EEENS1_27BinaryOpScalarTensorFunctorIfLi2ELi1ELi1EEEJSt4plusIfEPffEEEvT_T0_DpT1_,"axG",@progbits,_ZN2at6native12_GLOBAL__N_125multi_tensor_apply_kernelINS1_18TensorListMetadataILi2EEENS1_27BinaryOpScalarTensorFunctorIfLi2ELi1ELi1EEEJSt4plusIfEPffEEEvT_T0_DpT1_,comdat
.Lfunc_end18:
	.size	_ZN2at6native12_GLOBAL__N_125multi_tensor_apply_kernelINS1_18TensorListMetadataILi2EEENS1_27BinaryOpScalarTensorFunctorIfLi2ELi1ELi1EEEJSt4plusIfEPffEEEvT_T0_DpT1_, .Lfunc_end18-_ZN2at6native12_GLOBAL__N_125multi_tensor_apply_kernelINS1_18TensorListMetadataILi2EEENS1_27BinaryOpScalarTensorFunctorIfLi2ELi1ELi1EEEJSt4plusIfEPffEEEvT_T0_DpT1_
                                        ; -- End function
	.section	.AMDGPU.csdata,"",@progbits
; Kernel info:
; codeLenInByte = 1276
; NumSgprs: 29
; NumVgprs: 32
; NumAgprs: 0
; TotalNumVgprs: 32
; ScratchSize: 0
; MemoryBound: 0
; FloatMode: 240
; IeeeMode: 1
; LDSByteSize: 0 bytes/workgroup (compile time only)
; SGPRBlocks: 3
; VGPRBlocks: 3
; NumSGPRsForWavesPerEU: 29
; NumVGPRsForWavesPerEU: 32
; AccumOffset: 32
; Occupancy: 8
; WaveLimiterHint : 0
; COMPUTE_PGM_RSRC2:SCRATCH_EN: 0
; COMPUTE_PGM_RSRC2:USER_SGPR: 6
; COMPUTE_PGM_RSRC2:TRAP_HANDLER: 0
; COMPUTE_PGM_RSRC2:TGID_X_EN: 1
; COMPUTE_PGM_RSRC2:TGID_Y_EN: 0
; COMPUTE_PGM_RSRC2:TGID_Z_EN: 0
; COMPUTE_PGM_RSRC2:TIDIG_COMP_CNT: 0
; COMPUTE_PGM_RSRC3_GFX90A:ACCUM_OFFSET: 7
; COMPUTE_PGM_RSRC3_GFX90A:TG_SPLIT: 0
	.section	.text._ZN2at6native12_GLOBAL__N_125multi_tensor_apply_kernelINS1_18TensorListMetadataILi2EEENS1_27BinaryOpScalarTensorFunctorIN3c107complexIdEELi2ELi1ELi1EEEJSt4plusIS8_EPS8_S8_EEEvT_T0_DpT1_,"axG",@progbits,_ZN2at6native12_GLOBAL__N_125multi_tensor_apply_kernelINS1_18TensorListMetadataILi2EEENS1_27BinaryOpScalarTensorFunctorIN3c107complexIdEELi2ELi1ELi1EEEJSt4plusIS8_EPS8_S8_EEEvT_T0_DpT1_,comdat
	.globl	_ZN2at6native12_GLOBAL__N_125multi_tensor_apply_kernelINS1_18TensorListMetadataILi2EEENS1_27BinaryOpScalarTensorFunctorIN3c107complexIdEELi2ELi1ELi1EEEJSt4plusIS8_EPS8_S8_EEEvT_T0_DpT1_ ; -- Begin function _ZN2at6native12_GLOBAL__N_125multi_tensor_apply_kernelINS1_18TensorListMetadataILi2EEENS1_27BinaryOpScalarTensorFunctorIN3c107complexIdEELi2ELi1ELi1EEEJSt4plusIS8_EPS8_S8_EEEvT_T0_DpT1_
	.p2align	8
	.type	_ZN2at6native12_GLOBAL__N_125multi_tensor_apply_kernelINS1_18TensorListMetadataILi2EEENS1_27BinaryOpScalarTensorFunctorIN3c107complexIdEELi2ELi1ELi1EEEJSt4plusIS8_EPS8_S8_EEEvT_T0_DpT1_,@function
_ZN2at6native12_GLOBAL__N_125multi_tensor_apply_kernelINS1_18TensorListMetadataILi2EEENS1_27BinaryOpScalarTensorFunctorIN3c107complexIdEELi2ELi1ELi1EEEJSt4plusIS8_EPS8_S8_EEEvT_T0_DpT1_: ; @_ZN2at6native12_GLOBAL__N_125multi_tensor_apply_kernelINS1_18TensorListMetadataILi2EEENS1_27BinaryOpScalarTensorFunctorIN3c107complexIdEELi2ELi1ELi1EEEJSt4plusIS8_EPS8_S8_EEEvT_T0_DpT1_
; %bb.0:
	v_mov_b32_e32 v1, s6
	global_load_ubyte v1, v1, s[4:5] offset:1536
	s_load_dwordx4 s[8:11], s[4:5], 0xc60
	s_add_u32 s0, s4, s6
	s_mul_hi_u32 s2, s6, 3
	s_mul_i32 s6, s6, 3
	s_addc_u32 s7, s5, 0
	s_add_u32 s6, s0, s6
	s_addc_u32 s7, s7, s2
	s_load_dword s16, s[6:7], 0x740
	s_mov_b32 s1, 0
	s_mov_b32 s3, s1
	;; [unrolled: 1-line block ×3, first 2 shown]
	s_waitcnt lgkmcnt(0)
	s_ashr_i32 s17, s16, 31
	s_lshl_b64 s[14:15], s[16:17], 20
	s_waitcnt vmcnt(0)
	v_readfirstlane_b32 s0, v1
	s_lshl_b32 s0, s0, 3
	s_load_dwordx2 s[22:23], s[4:5], s0 offset:0x0
	s_load_dwordx2 s[12:13], s[4:5], 0xc50
	s_load_dwordx2 s[18:19], s[4:5], s0 offset:0x400
	s_load_dwordx2 s[6:7], s[4:5], s0 offset:0x200
	s_waitcnt lgkmcnt(0)
	s_add_u32 s26, s22, s14
	s_addc_u32 s27, s23, s15
	s_add_u32 s28, s6, s14
	s_addc_u32 s29, s7, s15
	s_and_b32 s2, s26, 63
	s_and_b32 s20, s18, 3
	;; [unrolled: 1-line block ×3, first 2 shown]
	s_or_b64 s[2:3], s[2:3], s[20:21]
	s_lshl_b64 s[16:17], s[16:17], 16
	s_or_b64 s[2:3], s[0:1], s[2:3]
	s_sub_u32 s16, s18, s16
	s_subb_u32 s17, s19, s17
	s_cmp_eq_u64 s[2:3], 0
	s_mov_b64 s[2:3], -1
	s_cbranch_scc0 .LBB19_5
; %bb.1:
	v_mov_b32_e32 v3, 0
	v_lshlrev_b32_e32 v2, 2, v0
	v_cmp_gt_i64_e32 vcc, s[16:17], v[2:3]
	s_and_saveexec_b64 s[18:19], vcc
	s_cbranch_execz .LBB19_4
; %bb.2:
	s_load_dword s0, s[4:5], 0xc7c
	v_lshlrev_b32_e32 v4, 6, v0
	s_mov_b64 s[20:21], 0
	s_mov_b64 s[24:25], 0xffff
	v_mov_b32_e32 v1, s1
	s_waitcnt lgkmcnt(0)
	s_and_b32 s0, s0, 0xffff
	v_add_lshl_u32 v2, v0, s0, 2
	s_lshl_b32 s30, s0, 2
	s_lshl_b32 s31, s0, 6
	v_pk_mov_b32 v[6:7], v[2:3], v[2:3] op_sel:[0,1]
.LBB19_3:                               ; =>This Inner Loop Header: Depth=1
	global_load_dwordx4 v[8:11], v3, s[12:13]
	v_mov_b32_e32 v2, s27
	v_add_co_u32_e32 v28, vcc, s26, v4
	v_addc_co_u32_e32 v29, vcc, 0, v2, vcc
	global_load_dwordx4 v[12:15], v[28:29], off
	global_load_dwordx4 v[16:19], v[28:29], off offset:16
	global_load_dwordx4 v[20:23], v[28:29], off offset:32
	;; [unrolled: 1-line block ×3, first 2 shown]
	v_cmp_le_i64_e32 vcc, s[16:17], v[6:7]
	v_cmp_lt_u64_e64 s[0:1], s[24:25], v[6:7]
	s_or_b64 s[0:1], vcc, s[0:1]
	v_add_co_u32_e64 v6, s[2:3], s30, v6
	s_add_u32 s26, s26, s31
	v_addc_co_u32_e64 v7, s[2:3], v7, v1, s[2:3]
	s_addc_u32 s27, s27, 0
	v_add_co_u32_e64 v28, s[2:3], s28, v4
	s_add_u32 s28, s28, s31
	v_mov_b32_e32 v2, s29
	s_addc_u32 s29, s29, 0
	s_and_b64 s[0:1], exec, s[0:1]
	v_addc_co_u32_e64 v29, s[2:3], 0, v2, s[2:3]
	s_or_b64 s[20:21], s[0:1], s[20:21]
	s_waitcnt vmcnt(4)
	v_mul_f64 v[30:31], s[10:11], v[10:11]
	v_mul_f64 v[32:33], s[8:9], v[10:11]
	v_fma_f64 v[30:31], s[8:9], v[8:9], -v[30:31]
	v_fmac_f64_e32 v[32:33], s[10:11], v[8:9]
	s_waitcnt vmcnt(3)
	v_add_f64 v[8:9], v[12:13], v[30:31]
	v_add_f64 v[10:11], v[14:15], v[32:33]
	s_waitcnt vmcnt(2)
	v_add_f64 v[12:13], v[16:17], v[30:31]
	v_add_f64 v[14:15], v[18:19], v[32:33]
	;; [unrolled: 3-line block ×4, first 2 shown]
	global_store_dwordx4 v[28:29], v[8:11], off
	global_store_dwordx4 v[28:29], v[12:15], off offset:16
	global_store_dwordx4 v[28:29], v[16:19], off offset:32
	;; [unrolled: 1-line block ×3, first 2 shown]
	s_andn2_b64 exec, exec, s[20:21]
	s_cbranch_execnz .LBB19_3
.LBB19_4:
	s_or_b64 exec, exec, s[18:19]
	s_mov_b64 s[2:3], 0
.LBB19_5:
	s_andn2_b64 vcc, exec, s[2:3]
	s_cbranch_vccnz .LBB19_25
; %bb.6:
	v_cmp_lt_i64_e64 s[0:1], s[16:17], 1
	s_and_b64 vcc, exec, s[0:1]
	s_cbranch_vccnz .LBB19_25
; %bb.7:
	s_load_dword s0, s[4:5], 0xc7c
	v_mov_b32_e32 v2, 0x10000
	v_mov_b32_e32 v3, 0
	v_cmp_lt_u64_e32 vcc, s[16:17], v[2:3]
	v_lshl_or_b32 v2, v0, 4, 8
	s_waitcnt lgkmcnt(0)
	s_and_b32 s27, s0, 0xffff
	s_and_b64 s[0:1], vcc, exec
	v_mov_b32_e32 v6, s23
	v_add_co_u32_e32 v18, vcc, s22, v2
	v_addc_co_u32_e32 v19, vcc, 0, v6, vcc
	v_mov_b32_e32 v7, s7
	v_add_co_u32_e32 v20, vcc, s6, v2
	v_mov_b32_e32 v1, 0
	v_addc_co_u32_e32 v21, vcc, 0, v7, vcc
	v_add_lshl_u32 v8, v0, s27, 4
	v_mov_b32_e32 v3, v1
	v_add_co_u32_e32 v22, vcc, s6, v8
	v_addc_co_u32_e32 v23, vcc, 0, v7, vcc
	v_mad_u64_u32 v[4:5], s[0:1], s27, 48, v[2:3]
	v_add_co_u32_e32 v24, vcc, s22, v4
	v_addc_co_u32_e32 v25, vcc, v6, v5, vcc
	v_add_co_u32_e32 v26, vcc, s22, v8
	v_addc_co_u32_e32 v27, vcc, 0, v6, vcc
	v_add_co_u32_e32 v28, vcc, s6, v4
	s_cselect_b32 s19, s17, 0
	s_cselect_b32 s18, s16, 0x10000
	v_addc_co_u32_e32 v29, vcc, v7, v5, vcc
	s_lshl_b32 s0, s27, 5
	v_add_co_u32_e32 v2, vcc, s0, v2
	v_addc_co_u32_e64 v3, s[0:1], 0, 0, vcc
	v_add_co_u32_e32 v30, vcc, s22, v2
	s_mov_b32 s26, 0
	v_addc_co_u32_e32 v31, vcc, v6, v3, vcc
	s_lshl_b32 s20, s27, 2
	s_mov_b32 s21, s26
	v_add_co_u32_e32 v32, vcc, s6, v2
	s_lshl_b32 s28, s27, 1
	s_mov_b32 s29, s26
	s_mul_i32 s30, s27, 3
	s_mov_b32 s31, s26
	s_lshl_b32 s33, s27, 6
	s_mov_b32 s34, s26
	v_addc_co_u32_e32 v33, vcc, v7, v3, vcc
	v_pk_mov_b32 v[34:35], v[0:1], v[0:1] op_sel:[0,1]
	s_mov_b64 s[22:23], s[20:21]
	s_branch .LBB19_9
.LBB19_8:                               ;   in Loop: Header=BB19_9 Depth=1
	s_or_b64 exec, exec, s[0:1]
	v_pk_mov_b32 v[2:3], s[16:17], s[16:17] op_sel:[0,1]
	v_cmp_ge_i64_e32 vcc, s[22:23], v[2:3]
	v_mov_b32_e32 v2, 0xffff
	v_mov_b32_e32 v3, 0
	v_cmp_gt_u64_e64 s[0:1], s[22:23], v[2:3]
	s_or_b64 s[0:1], vcc, s[0:1]
	v_mov_b32_e32 v0, s21
	v_add_co_u32_e32 v34, vcc, s20, v34
	v_addc_co_u32_e32 v35, vcc, v35, v0, vcc
	v_mov_b32_e32 v0, s34
	v_add_co_u32_e32 v18, vcc, s33, v18
	v_addc_co_u32_e32 v19, vcc, v19, v0, vcc
	v_add_co_u32_e32 v20, vcc, s33, v20
	v_addc_co_u32_e32 v21, vcc, v21, v0, vcc
	;; [unrolled: 2-line block ×7, first 2 shown]
	v_add_co_u32_e32 v32, vcc, s33, v32
	s_add_u32 s22, s22, s20
	v_addc_co_u32_e32 v33, vcc, v33, v0, vcc
	s_addc_u32 s23, s23, 0
	s_and_b64 vcc, exec, s[0:1]
	s_cbranch_vccnz .LBB19_25
.LBB19_9:                               ; =>This Inner Loop Header: Depth=1
	v_pk_mov_b32 v[4:5], 0, 0
	v_cmp_gt_u64_e32 vcc, s[18:19], v[34:35]
	v_pk_mov_b32 v[8:9], v[4:5], v[4:5] op_sel:[0,1]
	v_pk_mov_b32 v[6:7], v[4:5], v[4:5] op_sel:[0,1]
	s_and_saveexec_b64 s[2:3], vcc
	s_cbranch_execz .LBB19_11
; %bb.10:                               ;   in Loop: Header=BB19_9 Depth=1
	v_mov_b32_e32 v0, s15
	v_add_co_u32_e64 v2, s[0:1], s14, v18
	v_addc_co_u32_e64 v3, s[0:1], v19, v0, s[0:1]
	global_load_dwordx4 v[6:9], v[2:3], off offset:-8
.LBB19_11:                              ;   in Loop: Header=BB19_9 Depth=1
	s_or_b64 exec, exec, s[2:3]
	v_mov_b32_e32 v0, s26
	v_add_co_u32_e64 v2, s[0:1], s27, v34
	v_addc_co_u32_e64 v3, s[0:1], v0, v35, s[0:1]
	v_cmp_gt_u64_e64 s[0:1], s[18:19], v[2:3]
	v_pk_mov_b32 v[2:3], v[4:5], v[4:5] op_sel:[0,1]
	s_and_saveexec_b64 s[4:5], s[0:1]
	s_cbranch_execz .LBB19_13
; %bb.12:                               ;   in Loop: Header=BB19_9 Depth=1
	v_mov_b32_e32 v0, s15
	v_add_co_u32_e64 v2, s[2:3], s14, v26
	v_addc_co_u32_e64 v3, s[2:3], v27, v0, s[2:3]
	global_load_dwordx4 v[2:5], v[2:3], off
.LBB19_13:                              ;   in Loop: Header=BB19_9 Depth=1
	s_or_b64 exec, exec, s[4:5]
	v_mov_b32_e32 v0, s29
	v_add_co_u32_e64 v10, s[2:3], s28, v34
	v_addc_co_u32_e64 v11, s[2:3], v0, v35, s[2:3]
	v_pk_mov_b32 v[12:13], 0, 0
	v_cmp_gt_u64_e64 s[2:3], s[18:19], v[10:11]
	v_pk_mov_b32 v[16:17], v[12:13], v[12:13] op_sel:[0,1]
	v_pk_mov_b32 v[14:15], v[12:13], v[12:13] op_sel:[0,1]
	s_and_saveexec_b64 s[6:7], s[2:3]
	s_cbranch_execz .LBB19_15
; %bb.14:                               ;   in Loop: Header=BB19_9 Depth=1
	v_mov_b32_e32 v0, s15
	v_add_co_u32_e64 v10, s[4:5], s14, v30
	v_addc_co_u32_e64 v11, s[4:5], v31, v0, s[4:5]
	global_load_dwordx4 v[14:17], v[10:11], off offset:-8
.LBB19_15:                              ;   in Loop: Header=BB19_9 Depth=1
	s_or_b64 exec, exec, s[6:7]
	v_mov_b32_e32 v0, s31
	v_add_co_u32_e64 v10, s[4:5], s30, v34
	v_addc_co_u32_e64 v11, s[4:5], v0, v35, s[4:5]
	v_cmp_gt_u64_e64 s[4:5], s[18:19], v[10:11]
	v_pk_mov_b32 v[10:11], v[12:13], v[12:13] op_sel:[0,1]
	s_and_saveexec_b64 s[24:25], s[4:5]
	s_cbranch_execz .LBB19_17
; %bb.16:                               ;   in Loop: Header=BB19_9 Depth=1
	v_mov_b32_e32 v0, s15
	v_add_co_u32_e64 v10, s[6:7], s14, v24
	v_addc_co_u32_e64 v11, s[6:7], v25, v0, s[6:7]
	global_load_dwordx4 v[10:13], v[10:11], off offset:-8
.LBB19_17:                              ;   in Loop: Header=BB19_9 Depth=1
	s_or_b64 exec, exec, s[24:25]
	global_load_dwordx4 v[40:43], v1, s[12:13]
	s_waitcnt vmcnt(0)
	v_mul_f64 v[38:39], s[10:11], v[42:43]
	v_mul_f64 v[36:37], s[8:9], v[42:43]
	v_fma_f64 v[38:39], s[8:9], v[40:41], -v[38:39]
	v_fmac_f64_e32 v[36:37], s[10:11], v[40:41]
	s_and_saveexec_b64 s[6:7], vcc
	s_cbranch_execnz .LBB19_21
; %bb.18:                               ;   in Loop: Header=BB19_9 Depth=1
	s_or_b64 exec, exec, s[6:7]
	s_and_saveexec_b64 s[6:7], s[0:1]
	s_cbranch_execnz .LBB19_22
.LBB19_19:                              ;   in Loop: Header=BB19_9 Depth=1
	s_or_b64 exec, exec, s[6:7]
	s_and_saveexec_b64 s[0:1], s[2:3]
	s_cbranch_execnz .LBB19_23
.LBB19_20:                              ;   in Loop: Header=BB19_9 Depth=1
	s_or_b64 exec, exec, s[0:1]
	s_and_saveexec_b64 s[0:1], s[4:5]
	s_cbranch_execz .LBB19_8
	s_branch .LBB19_24
.LBB19_21:                              ;   in Loop: Header=BB19_9 Depth=1
	v_mov_b32_e32 v0, s15
	v_add_co_u32_e32 v40, vcc, s14, v20
	v_addc_co_u32_e32 v41, vcc, v21, v0, vcc
	v_add_f64 v[6:7], v[6:7], v[38:39]
	v_add_f64 v[8:9], v[8:9], v[36:37]
	global_store_dwordx4 v[40:41], v[6:9], off offset:-8
	s_or_b64 exec, exec, s[6:7]
	s_and_saveexec_b64 s[6:7], s[0:1]
	s_cbranch_execz .LBB19_19
.LBB19_22:                              ;   in Loop: Header=BB19_9 Depth=1
	v_mov_b32_e32 v0, s15
	v_add_co_u32_e32 v6, vcc, s14, v22
	v_add_f64 v[2:3], v[2:3], v[38:39]
	v_add_f64 v[4:5], v[4:5], v[36:37]
	v_addc_co_u32_e32 v7, vcc, v23, v0, vcc
	global_store_dwordx4 v[6:7], v[2:5], off
	s_or_b64 exec, exec, s[6:7]
	s_and_saveexec_b64 s[0:1], s[2:3]
	s_cbranch_execz .LBB19_20
.LBB19_23:                              ;   in Loop: Header=BB19_9 Depth=1
	v_mov_b32_e32 v0, s15
	v_add_co_u32_e32 v6, vcc, s14, v32
	v_add_f64 v[2:3], v[14:15], v[38:39]
	v_add_f64 v[4:5], v[16:17], v[36:37]
	v_addc_co_u32_e32 v7, vcc, v33, v0, vcc
	global_store_dwordx4 v[6:7], v[2:5], off offset:-8
	s_or_b64 exec, exec, s[0:1]
	s_and_saveexec_b64 s[0:1], s[4:5]
	s_cbranch_execz .LBB19_8
.LBB19_24:                              ;   in Loop: Header=BB19_9 Depth=1
	v_mov_b32_e32 v0, s15
	v_add_co_u32_e32 v6, vcc, s14, v28
	v_add_f64 v[2:3], v[10:11], v[38:39]
	v_add_f64 v[4:5], v[12:13], v[36:37]
	v_addc_co_u32_e32 v7, vcc, v29, v0, vcc
	global_store_dwordx4 v[6:7], v[2:5], off offset:-8
	s_branch .LBB19_8
.LBB19_25:
	s_endpgm
	.section	.rodata,"a",@progbits
	.p2align	6, 0x0
	.amdhsa_kernel _ZN2at6native12_GLOBAL__N_125multi_tensor_apply_kernelINS1_18TensorListMetadataILi2EEENS1_27BinaryOpScalarTensorFunctorIN3c107complexIdEELi2ELi1ELi1EEEJSt4plusIS8_EPS8_S8_EEEvT_T0_DpT1_
		.amdhsa_group_segment_fixed_size 0
		.amdhsa_private_segment_fixed_size 0
		.amdhsa_kernarg_size 3440
		.amdhsa_user_sgpr_count 6
		.amdhsa_user_sgpr_private_segment_buffer 1
		.amdhsa_user_sgpr_dispatch_ptr 0
		.amdhsa_user_sgpr_queue_ptr 0
		.amdhsa_user_sgpr_kernarg_segment_ptr 1
		.amdhsa_user_sgpr_dispatch_id 0
		.amdhsa_user_sgpr_flat_scratch_init 0
		.amdhsa_user_sgpr_kernarg_preload_length 0
		.amdhsa_user_sgpr_kernarg_preload_offset 0
		.amdhsa_user_sgpr_private_segment_size 0
		.amdhsa_uses_dynamic_stack 0
		.amdhsa_system_sgpr_private_segment_wavefront_offset 0
		.amdhsa_system_sgpr_workgroup_id_x 1
		.amdhsa_system_sgpr_workgroup_id_y 0
		.amdhsa_system_sgpr_workgroup_id_z 0
		.amdhsa_system_sgpr_workgroup_info 0
		.amdhsa_system_vgpr_workitem_id 0
		.amdhsa_next_free_vgpr 44
		.amdhsa_next_free_sgpr 35
		.amdhsa_accum_offset 44
		.amdhsa_reserve_vcc 1
		.amdhsa_reserve_flat_scratch 0
		.amdhsa_float_round_mode_32 0
		.amdhsa_float_round_mode_16_64 0
		.amdhsa_float_denorm_mode_32 3
		.amdhsa_float_denorm_mode_16_64 3
		.amdhsa_dx10_clamp 1
		.amdhsa_ieee_mode 1
		.amdhsa_fp16_overflow 0
		.amdhsa_tg_split 0
		.amdhsa_exception_fp_ieee_invalid_op 0
		.amdhsa_exception_fp_denorm_src 0
		.amdhsa_exception_fp_ieee_div_zero 0
		.amdhsa_exception_fp_ieee_overflow 0
		.amdhsa_exception_fp_ieee_underflow 0
		.amdhsa_exception_fp_ieee_inexact 0
		.amdhsa_exception_int_div_zero 0
	.end_amdhsa_kernel
	.section	.text._ZN2at6native12_GLOBAL__N_125multi_tensor_apply_kernelINS1_18TensorListMetadataILi2EEENS1_27BinaryOpScalarTensorFunctorIN3c107complexIdEELi2ELi1ELi1EEEJSt4plusIS8_EPS8_S8_EEEvT_T0_DpT1_,"axG",@progbits,_ZN2at6native12_GLOBAL__N_125multi_tensor_apply_kernelINS1_18TensorListMetadataILi2EEENS1_27BinaryOpScalarTensorFunctorIN3c107complexIdEELi2ELi1ELi1EEEJSt4plusIS8_EPS8_S8_EEEvT_T0_DpT1_,comdat
.Lfunc_end19:
	.size	_ZN2at6native12_GLOBAL__N_125multi_tensor_apply_kernelINS1_18TensorListMetadataILi2EEENS1_27BinaryOpScalarTensorFunctorIN3c107complexIdEELi2ELi1ELi1EEEJSt4plusIS8_EPS8_S8_EEEvT_T0_DpT1_, .Lfunc_end19-_ZN2at6native12_GLOBAL__N_125multi_tensor_apply_kernelINS1_18TensorListMetadataILi2EEENS1_27BinaryOpScalarTensorFunctorIN3c107complexIdEELi2ELi1ELi1EEEJSt4plusIS8_EPS8_S8_EEEvT_T0_DpT1_
                                        ; -- End function
	.section	.AMDGPU.csdata,"",@progbits
; Kernel info:
; codeLenInByte = 1528
; NumSgprs: 39
; NumVgprs: 44
; NumAgprs: 0
; TotalNumVgprs: 44
; ScratchSize: 0
; MemoryBound: 1
; FloatMode: 240
; IeeeMode: 1
; LDSByteSize: 0 bytes/workgroup (compile time only)
; SGPRBlocks: 4
; VGPRBlocks: 5
; NumSGPRsForWavesPerEU: 39
; NumVGPRsForWavesPerEU: 44
; AccumOffset: 44
; Occupancy: 8
; WaveLimiterHint : 0
; COMPUTE_PGM_RSRC2:SCRATCH_EN: 0
; COMPUTE_PGM_RSRC2:USER_SGPR: 6
; COMPUTE_PGM_RSRC2:TRAP_HANDLER: 0
; COMPUTE_PGM_RSRC2:TGID_X_EN: 1
; COMPUTE_PGM_RSRC2:TGID_Y_EN: 0
; COMPUTE_PGM_RSRC2:TGID_Z_EN: 0
; COMPUTE_PGM_RSRC2:TIDIG_COMP_CNT: 0
; COMPUTE_PGM_RSRC3_GFX90A:ACCUM_OFFSET: 10
; COMPUTE_PGM_RSRC3_GFX90A:TG_SPLIT: 0
	.section	.text._ZN2at6native12_GLOBAL__N_125multi_tensor_apply_kernelINS1_18TensorListMetadataILi2EEENS1_27BinaryOpScalarTensorFunctorIN3c107complexIfEELi2ELi1ELi1EEEJSt4plusIS8_EPS8_S8_EEEvT_T0_DpT1_,"axG",@progbits,_ZN2at6native12_GLOBAL__N_125multi_tensor_apply_kernelINS1_18TensorListMetadataILi2EEENS1_27BinaryOpScalarTensorFunctorIN3c107complexIfEELi2ELi1ELi1EEEJSt4plusIS8_EPS8_S8_EEEvT_T0_DpT1_,comdat
	.globl	_ZN2at6native12_GLOBAL__N_125multi_tensor_apply_kernelINS1_18TensorListMetadataILi2EEENS1_27BinaryOpScalarTensorFunctorIN3c107complexIfEELi2ELi1ELi1EEEJSt4plusIS8_EPS8_S8_EEEvT_T0_DpT1_ ; -- Begin function _ZN2at6native12_GLOBAL__N_125multi_tensor_apply_kernelINS1_18TensorListMetadataILi2EEENS1_27BinaryOpScalarTensorFunctorIN3c107complexIfEELi2ELi1ELi1EEEJSt4plusIS8_EPS8_S8_EEEvT_T0_DpT1_
	.p2align	8
	.type	_ZN2at6native12_GLOBAL__N_125multi_tensor_apply_kernelINS1_18TensorListMetadataILi2EEENS1_27BinaryOpScalarTensorFunctorIN3c107complexIfEELi2ELi1ELi1EEEJSt4plusIS8_EPS8_S8_EEEvT_T0_DpT1_,@function
_ZN2at6native12_GLOBAL__N_125multi_tensor_apply_kernelINS1_18TensorListMetadataILi2EEENS1_27BinaryOpScalarTensorFunctorIN3c107complexIfEELi2ELi1ELi1EEEJSt4plusIS8_EPS8_S8_EEEvT_T0_DpT1_: ; @_ZN2at6native12_GLOBAL__N_125multi_tensor_apply_kernelINS1_18TensorListMetadataILi2EEENS1_27BinaryOpScalarTensorFunctorIN3c107complexIfEELi2ELi1ELi1EEEJSt4plusIS8_EPS8_S8_EEEvT_T0_DpT1_
; %bb.0:
	v_mov_b32_e32 v1, s6
	global_load_ubyte v1, v1, s[4:5] offset:1536
	s_load_dwordx4 s[8:11], s[4:5], 0xc50
	s_add_u32 s0, s4, s6
	s_mul_hi_u32 s2, s6, 3
	s_mul_i32 s6, s6, 3
	s_addc_u32 s7, s5, 0
	s_add_u32 s6, s0, s6
	s_addc_u32 s7, s7, s2
	s_load_dword s14, s[6:7], 0x740
	s_mov_b32 s1, 0
	s_mov_b32 s3, s1
	;; [unrolled: 1-line block ×3, first 2 shown]
	s_waitcnt lgkmcnt(0)
	s_ashr_i32 s15, s14, 31
	s_lshl_b64 s[12:13], s[14:15], 19
	s_waitcnt vmcnt(0)
	v_readfirstlane_b32 s0, v1
	s_lshl_b32 s0, s0, 3
	s_load_dwordx2 s[20:21], s[4:5], s0 offset:0x0
	s_load_dwordx2 s[16:17], s[4:5], s0 offset:0x400
	;; [unrolled: 1-line block ×3, first 2 shown]
	s_waitcnt lgkmcnt(0)
	s_add_u32 s28, s20, s12
	s_addc_u32 s29, s21, s13
	s_add_u32 s30, s6, s12
	s_addc_u32 s31, s7, s13
	s_and_b32 s2, s28, 31
	s_and_b32 s18, s16, 3
	;; [unrolled: 1-line block ×3, first 2 shown]
	s_or_b64 s[2:3], s[2:3], s[18:19]
	s_lshl_b64 s[14:15], s[14:15], 16
	s_or_b64 s[2:3], s[0:1], s[2:3]
	s_sub_u32 s14, s16, s14
	s_subb_u32 s15, s17, s15
	s_cmp_eq_u64 s[2:3], 0
	s_mov_b64 s[2:3], -1
	s_cbranch_scc0 .LBB20_5
; %bb.1:
	v_mov_b32_e32 v3, 0
	v_lshlrev_b32_e32 v2, 2, v0
	v_cmp_gt_i64_e32 vcc, s[14:15], v[2:3]
	s_and_saveexec_b64 s[16:17], vcc
	s_cbranch_execz .LBB20_4
; %bb.2:
	s_load_dword s0, s[4:5], 0xc6c
	s_mov_b32 s18, s10
	s_mov_b32 s19, s10
	;; [unrolled: 1-line block ×4, first 2 shown]
	s_waitcnt lgkmcnt(0)
	s_and_b32 s0, s0, 0xffff
	v_add_lshl_u32 v2, v0, s0, 2
	s_lshl_b32 s33, s0, 2
	v_lshlrev_b32_e32 v4, 5, v0
	s_lshl_b32 s34, s0, 5
	s_mov_b64 s[24:25], 0
	s_mov_b64 s[26:27], 0xffff
	v_mov_b32_e32 v1, s1
	v_pk_mov_b32 v[6:7], v[2:3], v[2:3] op_sel:[0,1]
.LBB20_3:                               ; =>This Inner Loop Header: Depth=1
	global_load_dwordx2 v[16:17], v3, s[8:9]
	v_mov_b32_e32 v2, s29
	v_add_co_u32_e32 v18, vcc, s28, v4
	v_addc_co_u32_e32 v19, vcc, 0, v2, vcc
	global_load_dwordx4 v[8:11], v[18:19], off
	global_load_dwordx4 v[12:15], v[18:19], off offset:16
	v_cmp_le_i64_e32 vcc, s[14:15], v[6:7]
	v_cmp_lt_u64_e64 s[0:1], s[26:27], v[6:7]
	s_or_b64 s[0:1], vcc, s[0:1]
	v_add_co_u32_e64 v6, s[2:3], s33, v6
	s_add_u32 s28, s28, s34
	v_addc_co_u32_e64 v7, s[2:3], v7, v1, s[2:3]
	s_addc_u32 s29, s29, 0
	v_add_co_u32_e64 v18, s[2:3], s30, v4
	s_add_u32 s30, s30, s34
	v_mov_b32_e32 v2, s31
	s_addc_u32 s31, s31, 0
	s_and_b64 s[0:1], exec, s[0:1]
	v_addc_co_u32_e64 v19, s[2:3], 0, v2, s[2:3]
	s_or_b64 s[24:25], s[0:1], s[24:25]
	s_waitcnt vmcnt(2)
	v_pk_mul_f32 v[20:21], v[16:17], s[22:23]
	v_pk_fma_f32 v[22:23], v[16:17], s[18:19], v[20:21] op_sel:[0,0,1] op_sel_hi:[1,1,0] neg_lo:[0,0,1] neg_hi:[0,0,1]
	v_pk_fma_f32 v[16:17], v[16:17], s[18:19], v[20:21] op_sel:[0,0,1] op_sel_hi:[1,1,0]
	v_mov_b32_e32 v23, v17
	s_waitcnt vmcnt(1)
	v_pk_add_f32 v[8:9], v[8:9], v[22:23]
	v_pk_add_f32 v[10:11], v[10:11], v[22:23]
	s_waitcnt vmcnt(0)
	v_pk_add_f32 v[12:13], v[12:13], v[22:23]
	v_pk_add_f32 v[14:15], v[14:15], v[22:23]
	global_store_dwordx4 v[18:19], v[8:11], off
	global_store_dwordx4 v[18:19], v[12:15], off offset:16
	s_andn2_b64 exec, exec, s[24:25]
	s_cbranch_execnz .LBB20_3
.LBB20_4:
	s_or_b64 exec, exec, s[16:17]
	s_mov_b64 s[2:3], 0
.LBB20_5:
	s_andn2_b64 vcc, exec, s[2:3]
	s_cbranch_vccnz .LBB20_25
; %bb.6:
	v_cmp_lt_i64_e64 s[0:1], s[14:15], 1
	s_and_b64 vcc, exec, s[0:1]
	s_cbranch_vccnz .LBB20_25
; %bb.7:
	s_load_dword s0, s[4:5], 0xc6c
	v_mov_b32_e32 v4, 0x10000
	v_mov_b32_e32 v5, 0
	v_cmp_lt_u64_e32 vcc, s[14:15], v[4:5]
	v_lshlrev_b32_e32 v2, 3, v0
	s_waitcnt lgkmcnt(0)
	s_and_b32 s2, s0, 0xffff
	s_and_b64 s[0:1], vcc, exec
	v_mov_b32_e32 v15, s21
	v_add_co_u32_e32 v4, vcc, s20, v2
	v_addc_co_u32_e32 v1, vcc, 0, v15, vcc
	v_mov_b32_e32 v3, 0
	v_mov_b32_e32 v17, s7
	v_add_co_u32_e32 v6, vcc, s6, v2
	v_addc_co_u32_e32 v5, vcc, 0, v17, vcc
	v_mad_u64_u32 v[10:11], s[0:1], s2, 24, v[2:3]
	v_add_co_u32_e32 v8, vcc, s20, v10
	v_addc_co_u32_e32 v7, vcc, v15, v11, vcc
	v_add_co_u32_e32 v10, vcc, s6, v10
	s_mul_i32 s4, s2, 3
	v_addc_co_u32_e32 v9, vcc, v17, v11, vcc
	v_add_co_u32_e32 v28, vcc, s4, v0
	v_addc_co_u32_e64 v29, s[0:1], 0, 0, vcc
	s_cselect_b32 s17, s15, 0
	s_cselect_b32 s16, s14, 0x10000
	s_lshl_b32 s0, s2, 4
	v_add_co_u32_e32 v12, vcc, s0, v2
	v_addc_co_u32_e64 v13, s[0:1], 0, 0, vcc
	v_add_co_u32_e32 v2, vcc, s20, v12
	v_addc_co_u32_e32 v11, vcc, v15, v13, vcc
	v_add_co_u32_e32 v12, vcc, s6, v12
	s_lshl_b32 s3, s2, 1
	v_addc_co_u32_e32 v13, vcc, v17, v13, vcc
	v_add_co_u32_e32 v30, vcc, s3, v0
	v_addc_co_u32_e64 v31, s[0:1], 0, 0, vcc
	v_add_co_u32_e32 v32, vcc, s2, v0
	v_lshlrev_b32_e32 v16, 3, v32
	v_addc_co_u32_e64 v33, s[0:1], 0, 0, vcc
	v_add_co_u32_e32 v14, vcc, s20, v16
	v_addc_co_u32_e32 v15, vcc, 0, v15, vcc
	v_add_co_u32_e32 v16, vcc, s6, v16
	s_mov_b32 s24, 0
	s_lshl_b32 s25, s2, 2
	s_mov_b32 s18, s10
	s_mov_b32 s19, s10
	;; [unrolled: 1-line block ×3, first 2 shown]
	s_lshl_b32 s26, s2, 5
	v_addc_co_u32_e32 v17, vcc, 0, v17, vcc
	s_mov_b64 s[20:21], 0
	s_branch .LBB20_9
.LBB20_8:                               ;   in Loop: Header=BB20_9 Depth=1
	s_or_b64 exec, exec, s[0:1]
	s_add_u32 s20, s20, s25
	s_addc_u32 s21, s21, 0
	v_pk_mov_b32 v[18:19], s[14:15], s[14:15] op_sel:[0,1]
	v_cmp_ge_i64_e32 vcc, s[20:21], v[18:19]
	v_mov_b32_e32 v18, 0xffff
	v_mov_b32_e32 v19, 0
	v_cmp_gt_u64_e64 s[0:1], s[20:21], v[18:19]
	s_or_b64 s[0:1], vcc, s[0:1]
	v_mov_b32_e32 v18, s24
	v_add_co_u32_e32 v4, vcc, s26, v4
	v_addc_co_u32_e32 v1, vcc, v1, v18, vcc
	v_add_co_u32_e32 v6, vcc, s26, v6
	v_addc_co_u32_e32 v5, vcc, v5, v18, vcc
	v_add_co_u32_e32 v8, vcc, s26, v8
	v_addc_co_u32_e32 v7, vcc, v7, v18, vcc
	v_add_co_u32_e32 v10, vcc, s26, v10
	v_addc_co_u32_e32 v9, vcc, v9, v18, vcc
	v_add_co_u32_e32 v2, vcc, s26, v2
	v_addc_co_u32_e32 v11, vcc, v11, v18, vcc
	v_add_co_u32_e32 v12, vcc, s26, v12
	v_addc_co_u32_e32 v13, vcc, v13, v18, vcc
	v_add_co_u32_e32 v14, vcc, s26, v14
	v_addc_co_u32_e32 v15, vcc, v15, v18, vcc
	v_add_co_u32_e32 v16, vcc, s26, v16
	v_addc_co_u32_e32 v17, vcc, v17, v18, vcc
	s_and_b64 vcc, exec, s[0:1]
	s_cbranch_vccnz .LBB20_25
.LBB20_9:                               ; =>This Inner Loop Header: Depth=1
	v_mov_b32_e32 v19, s21
	v_add_co_u32_e32 v18, vcc, s20, v0
	v_addc_co_u32_e32 v19, vcc, 0, v19, vcc
	v_cmp_gt_u64_e32 vcc, s[16:17], v[18:19]
	v_mov_b32_e32 v20, 0
	v_mov_b32_e32 v21, 0
	s_and_saveexec_b64 s[2:3], vcc
	s_cbranch_execz .LBB20_11
; %bb.10:                               ;   in Loop: Header=BB20_9 Depth=1
	v_mov_b32_e32 v19, s13
	v_add_co_u32_e64 v18, s[0:1], s12, v4
	v_addc_co_u32_e64 v19, s[0:1], v1, v19, s[0:1]
	global_load_dwordx2 v[20:21], v[18:19], off
.LBB20_11:                              ;   in Loop: Header=BB20_9 Depth=1
	s_or_b64 exec, exec, s[2:3]
	v_mov_b32_e32 v19, s21
	v_add_co_u32_e64 v18, s[0:1], s20, v32
	v_addc_co_u32_e64 v19, s[0:1], v33, v19, s[0:1]
	v_cmp_gt_u64_e64 s[0:1], s[16:17], v[18:19]
	v_mov_b32_e32 v18, 0
	v_mov_b32_e32 v22, 0
	;; [unrolled: 1-line block ×3, first 2 shown]
	s_and_saveexec_b64 s[4:5], s[0:1]
	s_cbranch_execz .LBB20_13
; %bb.12:                               ;   in Loop: Header=BB20_9 Depth=1
	v_mov_b32_e32 v19, s13
	v_add_co_u32_e64 v22, s[2:3], s12, v14
	v_addc_co_u32_e64 v23, s[2:3], v15, v19, s[2:3]
	global_load_dwordx2 v[22:23], v[22:23], off
.LBB20_13:                              ;   in Loop: Header=BB20_9 Depth=1
	s_or_b64 exec, exec, s[4:5]
	v_mov_b32_e32 v19, s21
	v_add_co_u32_e64 v24, s[2:3], s20, v30
	v_addc_co_u32_e64 v25, s[2:3], v31, v19, s[2:3]
	v_cmp_gt_u64_e64 s[2:3], s[16:17], v[24:25]
	v_mov_b32_e32 v19, 0
	s_and_saveexec_b64 s[6:7], s[2:3]
	s_cbranch_execz .LBB20_15
; %bb.14:                               ;   in Loop: Header=BB20_9 Depth=1
	v_mov_b32_e32 v19, s13
	v_add_co_u32_e64 v18, s[4:5], s12, v2
	v_addc_co_u32_e64 v19, s[4:5], v11, v19, s[4:5]
	global_load_dwordx2 v[18:19], v[18:19], off
.LBB20_15:                              ;   in Loop: Header=BB20_9 Depth=1
	s_or_b64 exec, exec, s[6:7]
	v_mov_b32_e32 v25, s21
	v_add_co_u32_e64 v24, s[4:5], s20, v28
	v_addc_co_u32_e64 v25, s[4:5], v29, v25, s[4:5]
	v_cmp_gt_u64_e64 s[4:5], s[16:17], v[24:25]
	v_mov_b32_e32 v24, 0
	v_mov_b32_e32 v25, 0
	s_and_saveexec_b64 s[22:23], s[4:5]
	s_cbranch_execz .LBB20_17
; %bb.16:                               ;   in Loop: Header=BB20_9 Depth=1
	v_mov_b32_e32 v25, s13
	v_add_co_u32_e64 v24, s[6:7], s12, v8
	v_addc_co_u32_e64 v25, s[6:7], v7, v25, s[6:7]
	global_load_dwordx2 v[24:25], v[24:25], off
.LBB20_17:                              ;   in Loop: Header=BB20_9 Depth=1
	s_or_b64 exec, exec, s[22:23]
	global_load_dwordx2 v[34:35], v3, s[8:9]
	s_waitcnt vmcnt(0)
	v_pk_mul_f32 v[36:37], v[34:35], s[10:11]
	v_pk_fma_f32 v[26:27], v[34:35], s[18:19], v[36:37] op_sel:[0,0,1] op_sel_hi:[1,1,0] neg_lo:[0,0,1] neg_hi:[0,0,1]
	v_pk_fma_f32 v[34:35], v[34:35], s[18:19], v[36:37] op_sel:[0,0,1] op_sel_hi:[1,1,0]
	v_mov_b32_e32 v27, v35
	s_and_saveexec_b64 s[6:7], vcc
	s_cbranch_execnz .LBB20_21
; %bb.18:                               ;   in Loop: Header=BB20_9 Depth=1
	s_or_b64 exec, exec, s[6:7]
	s_and_saveexec_b64 s[6:7], s[0:1]
	s_cbranch_execnz .LBB20_22
.LBB20_19:                              ;   in Loop: Header=BB20_9 Depth=1
	s_or_b64 exec, exec, s[6:7]
	s_and_saveexec_b64 s[0:1], s[2:3]
	s_cbranch_execnz .LBB20_23
.LBB20_20:                              ;   in Loop: Header=BB20_9 Depth=1
	s_or_b64 exec, exec, s[0:1]
	s_and_saveexec_b64 s[0:1], s[4:5]
	s_cbranch_execz .LBB20_8
	s_branch .LBB20_24
.LBB20_21:                              ;   in Loop: Header=BB20_9 Depth=1
	v_mov_b32_e32 v35, s13
	v_add_co_u32_e32 v34, vcc, s12, v6
	v_addc_co_u32_e32 v35, vcc, v5, v35, vcc
	v_pk_add_f32 v[20:21], v[20:21], v[26:27]
	global_store_dwordx2 v[34:35], v[20:21], off
	s_or_b64 exec, exec, s[6:7]
	s_and_saveexec_b64 s[6:7], s[0:1]
	s_cbranch_execz .LBB20_19
.LBB20_22:                              ;   in Loop: Header=BB20_9 Depth=1
	v_pk_add_f32 v[20:21], v[22:23], v[26:27]
	v_mov_b32_e32 v23, s13
	v_add_co_u32_e32 v22, vcc, s12, v16
	v_addc_co_u32_e32 v23, vcc, v17, v23, vcc
	global_store_dwordx2 v[22:23], v[20:21], off
	s_or_b64 exec, exec, s[6:7]
	s_and_saveexec_b64 s[0:1], s[2:3]
	s_cbranch_execz .LBB20_20
.LBB20_23:                              ;   in Loop: Header=BB20_9 Depth=1
	v_mov_b32_e32 v21, s13
	v_add_co_u32_e32 v20, vcc, s12, v12
	v_pk_add_f32 v[18:19], v[18:19], v[26:27]
	v_addc_co_u32_e32 v21, vcc, v13, v21, vcc
	global_store_dwordx2 v[20:21], v[18:19], off
	s_or_b64 exec, exec, s[0:1]
	s_and_saveexec_b64 s[0:1], s[4:5]
	s_cbranch_execz .LBB20_8
.LBB20_24:                              ;   in Loop: Header=BB20_9 Depth=1
	v_mov_b32_e32 v21, s13
	v_add_co_u32_e32 v20, vcc, s12, v10
	v_pk_add_f32 v[18:19], v[24:25], v[26:27]
	v_addc_co_u32_e32 v21, vcc, v9, v21, vcc
	global_store_dwordx2 v[20:21], v[18:19], off
	s_branch .LBB20_8
.LBB20_25:
	s_endpgm
	.section	.rodata,"a",@progbits
	.p2align	6, 0x0
	.amdhsa_kernel _ZN2at6native12_GLOBAL__N_125multi_tensor_apply_kernelINS1_18TensorListMetadataILi2EEENS1_27BinaryOpScalarTensorFunctorIN3c107complexIfEELi2ELi1ELi1EEEJSt4plusIS8_EPS8_S8_EEEvT_T0_DpT1_
		.amdhsa_group_segment_fixed_size 0
		.amdhsa_private_segment_fixed_size 0
		.amdhsa_kernarg_size 3424
		.amdhsa_user_sgpr_count 6
		.amdhsa_user_sgpr_private_segment_buffer 1
		.amdhsa_user_sgpr_dispatch_ptr 0
		.amdhsa_user_sgpr_queue_ptr 0
		.amdhsa_user_sgpr_kernarg_segment_ptr 1
		.amdhsa_user_sgpr_dispatch_id 0
		.amdhsa_user_sgpr_flat_scratch_init 0
		.amdhsa_user_sgpr_kernarg_preload_length 0
		.amdhsa_user_sgpr_kernarg_preload_offset 0
		.amdhsa_user_sgpr_private_segment_size 0
		.amdhsa_uses_dynamic_stack 0
		.amdhsa_system_sgpr_private_segment_wavefront_offset 0
		.amdhsa_system_sgpr_workgroup_id_x 1
		.amdhsa_system_sgpr_workgroup_id_y 0
		.amdhsa_system_sgpr_workgroup_id_z 0
		.amdhsa_system_sgpr_workgroup_info 0
		.amdhsa_system_vgpr_workitem_id 0
		.amdhsa_next_free_vgpr 38
		.amdhsa_next_free_sgpr 35
		.amdhsa_accum_offset 40
		.amdhsa_reserve_vcc 1
		.amdhsa_reserve_flat_scratch 0
		.amdhsa_float_round_mode_32 0
		.amdhsa_float_round_mode_16_64 0
		.amdhsa_float_denorm_mode_32 3
		.amdhsa_float_denorm_mode_16_64 3
		.amdhsa_dx10_clamp 1
		.amdhsa_ieee_mode 1
		.amdhsa_fp16_overflow 0
		.amdhsa_tg_split 0
		.amdhsa_exception_fp_ieee_invalid_op 0
		.amdhsa_exception_fp_denorm_src 0
		.amdhsa_exception_fp_ieee_div_zero 0
		.amdhsa_exception_fp_ieee_overflow 0
		.amdhsa_exception_fp_ieee_underflow 0
		.amdhsa_exception_fp_ieee_inexact 0
		.amdhsa_exception_int_div_zero 0
	.end_amdhsa_kernel
	.section	.text._ZN2at6native12_GLOBAL__N_125multi_tensor_apply_kernelINS1_18TensorListMetadataILi2EEENS1_27BinaryOpScalarTensorFunctorIN3c107complexIfEELi2ELi1ELi1EEEJSt4plusIS8_EPS8_S8_EEEvT_T0_DpT1_,"axG",@progbits,_ZN2at6native12_GLOBAL__N_125multi_tensor_apply_kernelINS1_18TensorListMetadataILi2EEENS1_27BinaryOpScalarTensorFunctorIN3c107complexIfEELi2ELi1ELi1EEEJSt4plusIS8_EPS8_S8_EEEvT_T0_DpT1_,comdat
.Lfunc_end20:
	.size	_ZN2at6native12_GLOBAL__N_125multi_tensor_apply_kernelINS1_18TensorListMetadataILi2EEENS1_27BinaryOpScalarTensorFunctorIN3c107complexIfEELi2ELi1ELi1EEEJSt4plusIS8_EPS8_S8_EEEvT_T0_DpT1_, .Lfunc_end20-_ZN2at6native12_GLOBAL__N_125multi_tensor_apply_kernelINS1_18TensorListMetadataILi2EEENS1_27BinaryOpScalarTensorFunctorIN3c107complexIfEELi2ELi1ELi1EEEJSt4plusIS8_EPS8_S8_EEEvT_T0_DpT1_
                                        ; -- End function
	.section	.AMDGPU.csdata,"",@progbits
; Kernel info:
; codeLenInByte = 1412
; NumSgprs: 39
; NumVgprs: 38
; NumAgprs: 0
; TotalNumVgprs: 38
; ScratchSize: 0
; MemoryBound: 0
; FloatMode: 240
; IeeeMode: 1
; LDSByteSize: 0 bytes/workgroup (compile time only)
; SGPRBlocks: 4
; VGPRBlocks: 4
; NumSGPRsForWavesPerEU: 39
; NumVGPRsForWavesPerEU: 38
; AccumOffset: 40
; Occupancy: 8
; WaveLimiterHint : 0
; COMPUTE_PGM_RSRC2:SCRATCH_EN: 0
; COMPUTE_PGM_RSRC2:USER_SGPR: 6
; COMPUTE_PGM_RSRC2:TRAP_HANDLER: 0
; COMPUTE_PGM_RSRC2:TGID_X_EN: 1
; COMPUTE_PGM_RSRC2:TGID_Y_EN: 0
; COMPUTE_PGM_RSRC2:TGID_Z_EN: 0
; COMPUTE_PGM_RSRC2:TIDIG_COMP_CNT: 0
; COMPUTE_PGM_RSRC3_GFX90A:ACCUM_OFFSET: 9
; COMPUTE_PGM_RSRC3_GFX90A:TG_SPLIT: 0
	.section	.text._ZN2at6native12_GLOBAL__N_125multi_tensor_apply_kernelINS1_18TensorListMetadataILi2EEENS1_27BinaryOpScalarTensorFunctorIbLi2ELi1ELi1EEEJSt4plusIbEPbbEEEvT_T0_DpT1_,"axG",@progbits,_ZN2at6native12_GLOBAL__N_125multi_tensor_apply_kernelINS1_18TensorListMetadataILi2EEENS1_27BinaryOpScalarTensorFunctorIbLi2ELi1ELi1EEEJSt4plusIbEPbbEEEvT_T0_DpT1_,comdat
	.globl	_ZN2at6native12_GLOBAL__N_125multi_tensor_apply_kernelINS1_18TensorListMetadataILi2EEENS1_27BinaryOpScalarTensorFunctorIbLi2ELi1ELi1EEEJSt4plusIbEPbbEEEvT_T0_DpT1_ ; -- Begin function _ZN2at6native12_GLOBAL__N_125multi_tensor_apply_kernelINS1_18TensorListMetadataILi2EEENS1_27BinaryOpScalarTensorFunctorIbLi2ELi1ELi1EEEJSt4plusIbEPbbEEEvT_T0_DpT1_
	.p2align	8
	.type	_ZN2at6native12_GLOBAL__N_125multi_tensor_apply_kernelINS1_18TensorListMetadataILi2EEENS1_27BinaryOpScalarTensorFunctorIbLi2ELi1ELi1EEEJSt4plusIbEPbbEEEvT_T0_DpT1_,@function
_ZN2at6native12_GLOBAL__N_125multi_tensor_apply_kernelINS1_18TensorListMetadataILi2EEENS1_27BinaryOpScalarTensorFunctorIbLi2ELi1ELi1EEEJSt4plusIbEPbbEEEvT_T0_DpT1_: ; @_ZN2at6native12_GLOBAL__N_125multi_tensor_apply_kernelINS1_18TensorListMetadataILi2EEENS1_27BinaryOpScalarTensorFunctorIbLi2ELi1ELi1EEEJSt4plusIbEPbbEEEvT_T0_DpT1_
; %bb.0:
	v_mov_b32_e32 v1, s6
	global_load_ubyte v1, v1, s[4:5] offset:1536
	s_load_dword s0, s[4:5], 0xc58
	s_mul_i32 s2, s6, 3
	s_mul_hi_u32 s1, s6, 3
	s_waitcnt lgkmcnt(0)
	s_bitcmp1_b32 s0, 0
	s_cselect_b64 s[8:9], -1, 0
	s_add_u32 s0, s4, s6
	s_addc_u32 s3, s5, 0
	s_add_u32 s0, s0, s2
	s_addc_u32 s1, s3, s1
	s_load_dword s0, s[0:1], 0x740
	s_waitcnt vmcnt(0)
	v_readfirstlane_b32 s1, v1
	s_lshl_b32 s1, s1, 3
	s_load_dwordx2 s[2:3], s[4:5], s1 offset:0x0
	s_load_dwordx2 s[10:11], s[4:5], 0xc50
	s_load_dwordx2 s[16:17], s[4:5], s1 offset:0x400
	s_load_dwordx2 s[6:7], s[4:5], s1 offset:0x200
	s_waitcnt lgkmcnt(0)
	s_ashr_i32 s1, s0, 31
	s_lshl_b64 s[14:15], s[0:1], 16
	s_add_u32 s12, s2, s14
	s_addc_u32 s13, s3, s15
	s_add_u32 s24, s6, s14
	s_addc_u32 s22, s7, s15
	s_or_b64 s[0:1], s[16:17], s[12:13]
	s_or_b32 s0, s24, s0
	s_and_b32 s0, s0, 3
	s_sub_u32 s16, s16, s14
	s_subb_u32 s17, s17, s15
	s_cmp_eq_u32 s0, 0
	s_mov_b64 s[0:1], -1
	s_cbranch_scc0 .LBB21_5
; %bb.1:
	v_lshlrev_b32_e32 v2, 2, v0
	v_mov_b32_e32 v3, 0
	v_cmp_gt_i64_e32 vcc, s[16:17], v[2:3]
	s_and_saveexec_b64 s[18:19], vcc
	s_cbranch_execz .LBB21_4
; %bb.2:
	s_load_dword s0, s[4:5], 0xc6c
	s_mov_b32 s1, 0
	s_mov_b64 s[20:21], 0
	v_mov_b32_e32 v1, s13
	v_mov_b32_e32 v6, s22
	s_waitcnt lgkmcnt(0)
	s_and_b32 s0, s0, 0xffff
	s_lshl_b32 s13, s0, 2
	v_mov_b32_e32 v7, s1
	s_mov_b64 s[22:23], 0xffff
	v_mov_b32_e32 v8, 8
	v_pk_mov_b32 v[4:5], v[2:3], v[2:3] op_sel:[0,1]
.LBB21_3:                               ; =>This Inner Loop Header: Depth=1
	v_add_co_u32_e32 v10, vcc, s12, v4
	v_addc_co_u32_e32 v11, vcc, v1, v5, vcc
	global_load_ubyte v2, v3, s[10:11]
	global_load_dword v9, v[10:11], off
	v_add_co_u32_e32 v10, vcc, s24, v4
	v_addc_co_u32_e32 v11, vcc, v6, v5, vcc
	v_add_co_u32_e32 v4, vcc, s13, v4
	v_addc_co_u32_e32 v5, vcc, v7, v5, vcc
	v_cmp_le_i64_e32 vcc, s[16:17], v[4:5]
	v_cmp_lt_u64_e64 s[0:1], s[22:23], v[4:5]
	s_or_b64 s[0:1], vcc, s[0:1]
	s_waitcnt vmcnt(1)
	v_cmp_ne_u16_e32 vcc, 0, v2
	s_and_b64 s[26:27], vcc, s[8:9]
	v_cndmask_b32_e64 v12, 0, 1, s[26:27]
	s_waitcnt vmcnt(0)
	v_lshrrev_b32_e32 v2, 8, v9
	v_or_b32_sdwa v14, v12, v9 dst_sel:DWORD dst_unused:UNUSED_PAD src0_sel:DWORD src1_sel:WORD_1
	v_or_b32_e32 v13, v12, v9
	v_or_b32_e32 v2, v12, v2
	v_or_b32_sdwa v9, v12, v9 dst_sel:DWORD dst_unused:UNUSED_PAD src0_sel:DWORD src1_sel:BYTE_3
	v_and_b32_e32 v12, 0xff, v14
	v_lshlrev_b32_e32 v12, 16, v12
	s_and_b64 s[0:1], exec, s[0:1]
	v_lshlrev_b32_sdwa v2, v8, v2 dst_sel:DWORD dst_unused:UNUSED_PAD src0_sel:DWORD src1_sel:BYTE_0
	v_and_b32_e32 v13, 0xff, v13
	v_lshl_or_b32 v9, v9, 24, v12
	s_or_b64 s[20:21], s[0:1], s[20:21]
	v_or3_b32 v2, v9, v2, v13
	global_store_dword v[10:11], v2, off
	s_andn2_b64 exec, exec, s[20:21]
	s_cbranch_execnz .LBB21_3
.LBB21_4:
	s_or_b64 exec, exec, s[18:19]
	s_mov_b64 s[0:1], 0
.LBB21_5:
	s_andn2_b64 vcc, exec, s[0:1]
	s_cbranch_vccnz .LBB21_25
; %bb.6:
	v_cmp_lt_i64_e64 s[0:1], s[16:17], 1
	s_and_b64 vcc, exec, s[0:1]
	s_cbranch_vccnz .LBB21_25
; %bb.7:
	s_load_dword s0, s[4:5], 0xc6c
	v_mov_b32_e32 v2, 0x10000
	v_mov_b32_e32 v3, 0
	v_cmp_lt_u64_e32 vcc, s[16:17], v[2:3]
	v_mov_b32_e32 v2, s15
	s_waitcnt lgkmcnt(0)
	s_and_b32 s4, s0, 0xffff
	s_and_b64 s[0:1], vcc, exec
	v_add_co_u32_e32 v3, vcc, s14, v0
	v_addc_co_u32_e32 v2, vcc, 0, v2, vcc
	v_mov_b32_e32 v21, s3
	v_add_co_u32_e32 v4, vcc, s2, v3
	s_cselect_b32 s13, s17, 0
	s_cselect_b32 s12, s16, 0x10000
	s_lshl_b32 s5, s4, 1
	s_mul_i32 s0, s4, 3
	s_lshl_b32 s18, s4, 2
	v_addc_co_u32_e32 v5, vcc, v21, v2, vcc
	v_mov_b32_e32 v23, s7
	v_add_co_u32_e32 v6, vcc, s6, v3
	s_add_u32 s1, s14, s0
	v_addc_co_u32_e32 v7, vcc, v23, v2, vcc
	s_addc_u32 s3, s15, 0
	v_mov_b32_e32 v8, s3
	v_add_co_u32_e32 v10, vcc, s1, v0
	v_addc_co_u32_e32 v11, vcc, 0, v8, vcc
	v_add_co_u32_e32 v8, vcc, s2, v10
	v_addc_co_u32_e32 v9, vcc, v21, v11, vcc
	v_add_co_u32_e32 v10, vcc, s6, v10
	v_addc_co_u32_e32 v11, vcc, v23, v11, vcc
	v_add_co_u32_e32 v12, vcc, s0, v0
	v_addc_co_u32_e64 v13, s[0:1], 0, 0, vcc
	s_add_u32 s0, s14, s5
	s_addc_u32 s1, s15, 0
	v_mov_b32_e32 v14, s1
	v_add_co_u32_e32 v16, vcc, s0, v0
	v_addc_co_u32_e32 v17, vcc, 0, v14, vcc
	v_add_co_u32_e32 v14, vcc, s2, v16
	v_addc_co_u32_e32 v15, vcc, v21, v17, vcc
	;; [unrolled: 2-line block ×3, first 2 shown]
	v_add_co_u32_e32 v18, vcc, s5, v0
	v_addc_co_u32_e64 v19, s[0:1], 0, 0, vcc
	v_add_co_u32_e32 v3, vcc, s4, v3
	v_addc_co_u32_e32 v2, vcc, 0, v2, vcc
	v_add_co_u32_e32 v20, vcc, s2, v3
	v_addc_co_u32_e32 v21, vcc, v21, v2, vcc
	;; [unrolled: 2-line block ×3, first 2 shown]
	v_add_co_u32_e32 v24, vcc, s4, v0
	v_mov_b32_e32 v1, 0
	v_addc_co_u32_e64 v25, s[0:1], 0, 0, vcc
	s_mov_b64 s[14:15], 0
	v_pk_mov_b32 v[2:3], s[16:17], s[16:17] op_sel:[0,1]
	s_branch .LBB21_9
.LBB21_8:                               ;   in Loop: Header=BB21_9 Depth=1
	s_or_b64 exec, exec, s[0:1]
	s_add_u32 s14, s14, s18
	v_mov_b32_e32 v26, 0xffff
	s_addc_u32 s15, s15, 0
	v_mov_b32_e32 v27, 0
	v_cmp_ge_i64_e32 vcc, s[14:15], v[2:3]
	v_cmp_gt_u64_e64 s[0:1], s[14:15], v[26:27]
	s_or_b64 s[0:1], vcc, s[0:1]
	s_and_b64 vcc, exec, s[0:1]
	s_cbranch_vccnz .LBB21_25
.LBB21_9:                               ; =>This Inner Loop Header: Depth=1
	v_mov_b32_e32 v27, s15
	v_add_co_u32_e32 v26, vcc, s14, v0
	v_addc_co_u32_e32 v27, vcc, 0, v27, vcc
	v_cmp_gt_u64_e32 vcc, s[12:13], v[26:27]
	v_mov_b32_e32 v27, 0
	s_and_saveexec_b64 s[2:3], vcc
	s_cbranch_execz .LBB21_11
; %bb.10:                               ;   in Loop: Header=BB21_9 Depth=1
	v_mov_b32_e32 v27, s15
	v_add_co_u32_e64 v26, s[0:1], s14, v4
	v_addc_co_u32_e64 v27, s[0:1], v5, v27, s[0:1]
	global_load_ubyte v27, v[26:27], off
.LBB21_11:                              ;   in Loop: Header=BB21_9 Depth=1
	s_or_b64 exec, exec, s[2:3]
	v_mov_b32_e32 v26, s15
	v_add_co_u32_e64 v28, s[0:1], s14, v24
	v_addc_co_u32_e64 v29, s[0:1], v25, v26, s[0:1]
	v_cmp_gt_u64_e64 s[0:1], s[12:13], v[28:29]
	v_mov_b32_e32 v26, 0
	v_mov_b32_e32 v28, 0
	s_and_saveexec_b64 s[4:5], s[0:1]
	s_cbranch_execz .LBB21_13
; %bb.12:                               ;   in Loop: Header=BB21_9 Depth=1
	v_mov_b32_e32 v29, s15
	v_add_co_u32_e64 v28, s[2:3], s14, v20
	v_addc_co_u32_e64 v29, s[2:3], v21, v29, s[2:3]
	global_load_ubyte v28, v[28:29], off
.LBB21_13:                              ;   in Loop: Header=BB21_9 Depth=1
	s_or_b64 exec, exec, s[4:5]
	v_mov_b32_e32 v29, s15
	v_add_co_u32_e64 v30, s[2:3], s14, v18
	v_addc_co_u32_e64 v31, s[2:3], v19, v29, s[2:3]
	v_cmp_gt_u64_e64 s[2:3], s[12:13], v[30:31]
	s_and_saveexec_b64 s[6:7], s[2:3]
	s_cbranch_execz .LBB21_15
; %bb.14:                               ;   in Loop: Header=BB21_9 Depth=1
	v_mov_b32_e32 v26, s15
	v_add_co_u32_e64 v30, s[4:5], s14, v14
	v_addc_co_u32_e64 v31, s[4:5], v15, v26, s[4:5]
	global_load_ubyte v26, v[30:31], off
.LBB21_15:                              ;   in Loop: Header=BB21_9 Depth=1
	s_or_b64 exec, exec, s[6:7]
	v_mov_b32_e32 v29, s15
	v_add_co_u32_e64 v30, s[4:5], s14, v12
	v_addc_co_u32_e64 v31, s[4:5], v13, v29, s[4:5]
	v_cmp_gt_u64_e64 s[4:5], s[12:13], v[30:31]
	v_mov_b32_e32 v29, 0
	s_and_saveexec_b64 s[16:17], s[4:5]
	s_cbranch_execz .LBB21_17
; %bb.16:                               ;   in Loop: Header=BB21_9 Depth=1
	v_mov_b32_e32 v29, s15
	v_add_co_u32_e64 v30, s[6:7], s14, v8
	v_addc_co_u32_e64 v31, s[6:7], v9, v29, s[6:7]
	global_load_ubyte v29, v[30:31], off
.LBB21_17:                              ;   in Loop: Header=BB21_9 Depth=1
	s_or_b64 exec, exec, s[16:17]
	global_load_ubyte v30, v1, s[10:11]
	s_waitcnt vmcnt(0)
	v_cmp_ne_u16_e64 s[6:7], 0, v30
	s_and_b64 s[6:7], s[6:7], s[8:9]
	v_cndmask_b32_e64 v30, 0, 1, s[6:7]
	s_and_saveexec_b64 s[6:7], vcc
	s_cbranch_execnz .LBB21_21
; %bb.18:                               ;   in Loop: Header=BB21_9 Depth=1
	s_or_b64 exec, exec, s[6:7]
	s_and_saveexec_b64 s[6:7], s[0:1]
	s_cbranch_execnz .LBB21_22
.LBB21_19:                              ;   in Loop: Header=BB21_9 Depth=1
	s_or_b64 exec, exec, s[6:7]
	s_and_saveexec_b64 s[0:1], s[2:3]
	s_cbranch_execnz .LBB21_23
.LBB21_20:                              ;   in Loop: Header=BB21_9 Depth=1
	s_or_b64 exec, exec, s[0:1]
	s_and_saveexec_b64 s[0:1], s[4:5]
	s_cbranch_execz .LBB21_8
	s_branch .LBB21_24
.LBB21_21:                              ;   in Loop: Header=BB21_9 Depth=1
	v_mov_b32_e32 v31, s15
	v_add_co_u32_e32 v32, vcc, s14, v6
	v_addc_co_u32_e32 v33, vcc, v7, v31, vcc
	v_or_b32_e32 v27, v27, v30
	global_store_byte v[32:33], v27, off
	s_or_b64 exec, exec, s[6:7]
	s_and_saveexec_b64 s[6:7], s[0:1]
	s_cbranch_execz .LBB21_19
.LBB21_22:                              ;   in Loop: Header=BB21_9 Depth=1
	v_or_b32_e32 v27, v28, v30
	v_mov_b32_e32 v28, s15
	v_add_co_u32_e32 v32, vcc, s14, v22
	v_addc_co_u32_e32 v33, vcc, v23, v28, vcc
	global_store_byte v[32:33], v27, off
	s_or_b64 exec, exec, s[6:7]
	s_and_saveexec_b64 s[0:1], s[2:3]
	s_cbranch_execz .LBB21_20
.LBB21_23:                              ;   in Loop: Header=BB21_9 Depth=1
	v_or_b32_e32 v28, v26, v30
	v_mov_b32_e32 v27, s15
	v_add_co_u32_e32 v26, vcc, s14, v16
	v_addc_co_u32_e32 v27, vcc, v17, v27, vcc
	global_store_byte v[26:27], v28, off
	s_or_b64 exec, exec, s[0:1]
	s_and_saveexec_b64 s[0:1], s[4:5]
	s_cbranch_execz .LBB21_8
.LBB21_24:                              ;   in Loop: Header=BB21_9 Depth=1
	v_mov_b32_e32 v27, s15
	v_add_co_u32_e32 v26, vcc, s14, v10
	v_or_b32_e32 v28, v29, v30
	v_addc_co_u32_e32 v27, vcc, v11, v27, vcc
	global_store_byte v[26:27], v28, off
	s_branch .LBB21_8
.LBB21_25:
	s_endpgm
	.section	.rodata,"a",@progbits
	.p2align	6, 0x0
	.amdhsa_kernel _ZN2at6native12_GLOBAL__N_125multi_tensor_apply_kernelINS1_18TensorListMetadataILi2EEENS1_27BinaryOpScalarTensorFunctorIbLi2ELi1ELi1EEEJSt4plusIbEPbbEEEvT_T0_DpT1_
		.amdhsa_group_segment_fixed_size 0
		.amdhsa_private_segment_fixed_size 0
		.amdhsa_kernarg_size 3424
		.amdhsa_user_sgpr_count 6
		.amdhsa_user_sgpr_private_segment_buffer 1
		.amdhsa_user_sgpr_dispatch_ptr 0
		.amdhsa_user_sgpr_queue_ptr 0
		.amdhsa_user_sgpr_kernarg_segment_ptr 1
		.amdhsa_user_sgpr_dispatch_id 0
		.amdhsa_user_sgpr_flat_scratch_init 0
		.amdhsa_user_sgpr_kernarg_preload_length 0
		.amdhsa_user_sgpr_kernarg_preload_offset 0
		.amdhsa_user_sgpr_private_segment_size 0
		.amdhsa_uses_dynamic_stack 0
		.amdhsa_system_sgpr_private_segment_wavefront_offset 0
		.amdhsa_system_sgpr_workgroup_id_x 1
		.amdhsa_system_sgpr_workgroup_id_y 0
		.amdhsa_system_sgpr_workgroup_id_z 0
		.amdhsa_system_sgpr_workgroup_info 0
		.amdhsa_system_vgpr_workitem_id 0
		.amdhsa_next_free_vgpr 34
		.amdhsa_next_free_sgpr 28
		.amdhsa_accum_offset 36
		.amdhsa_reserve_vcc 1
		.amdhsa_reserve_flat_scratch 0
		.amdhsa_float_round_mode_32 0
		.amdhsa_float_round_mode_16_64 0
		.amdhsa_float_denorm_mode_32 3
		.amdhsa_float_denorm_mode_16_64 3
		.amdhsa_dx10_clamp 1
		.amdhsa_ieee_mode 1
		.amdhsa_fp16_overflow 0
		.amdhsa_tg_split 0
		.amdhsa_exception_fp_ieee_invalid_op 0
		.amdhsa_exception_fp_denorm_src 0
		.amdhsa_exception_fp_ieee_div_zero 0
		.amdhsa_exception_fp_ieee_overflow 0
		.amdhsa_exception_fp_ieee_underflow 0
		.amdhsa_exception_fp_ieee_inexact 0
		.amdhsa_exception_int_div_zero 0
	.end_amdhsa_kernel
	.section	.text._ZN2at6native12_GLOBAL__N_125multi_tensor_apply_kernelINS1_18TensorListMetadataILi2EEENS1_27BinaryOpScalarTensorFunctorIbLi2ELi1ELi1EEEJSt4plusIbEPbbEEEvT_T0_DpT1_,"axG",@progbits,_ZN2at6native12_GLOBAL__N_125multi_tensor_apply_kernelINS1_18TensorListMetadataILi2EEENS1_27BinaryOpScalarTensorFunctorIbLi2ELi1ELi1EEEJSt4plusIbEPbbEEEvT_T0_DpT1_,comdat
.Lfunc_end21:
	.size	_ZN2at6native12_GLOBAL__N_125multi_tensor_apply_kernelINS1_18TensorListMetadataILi2EEENS1_27BinaryOpScalarTensorFunctorIbLi2ELi1ELi1EEEJSt4plusIbEPbbEEEvT_T0_DpT1_, .Lfunc_end21-_ZN2at6native12_GLOBAL__N_125multi_tensor_apply_kernelINS1_18TensorListMetadataILi2EEENS1_27BinaryOpScalarTensorFunctorIbLi2ELi1ELi1EEEJSt4plusIbEPbbEEEvT_T0_DpT1_
                                        ; -- End function
	.section	.AMDGPU.csdata,"",@progbits
; Kernel info:
; codeLenInByte = 1256
; NumSgprs: 32
; NumVgprs: 34
; NumAgprs: 0
; TotalNumVgprs: 34
; ScratchSize: 0
; MemoryBound: 0
; FloatMode: 240
; IeeeMode: 1
; LDSByteSize: 0 bytes/workgroup (compile time only)
; SGPRBlocks: 3
; VGPRBlocks: 4
; NumSGPRsForWavesPerEU: 32
; NumVGPRsForWavesPerEU: 34
; AccumOffset: 36
; Occupancy: 8
; WaveLimiterHint : 0
; COMPUTE_PGM_RSRC2:SCRATCH_EN: 0
; COMPUTE_PGM_RSRC2:USER_SGPR: 6
; COMPUTE_PGM_RSRC2:TRAP_HANDLER: 0
; COMPUTE_PGM_RSRC2:TGID_X_EN: 1
; COMPUTE_PGM_RSRC2:TGID_Y_EN: 0
; COMPUTE_PGM_RSRC2:TGID_Z_EN: 0
; COMPUTE_PGM_RSRC2:TIDIG_COMP_CNT: 0
; COMPUTE_PGM_RSRC3_GFX90A:ACCUM_OFFSET: 8
; COMPUTE_PGM_RSRC3_GFX90A:TG_SPLIT: 0
	.section	.text._ZN2at6native12_GLOBAL__N_125multi_tensor_apply_kernelINS1_18TensorListMetadataILi2EEENS1_27BinaryOpScalarTensorFunctorIN3c104HalfELi2ELi1ELi1EEEJSt4plusIfEPS7_fEEEvT_T0_DpT1_,"axG",@progbits,_ZN2at6native12_GLOBAL__N_125multi_tensor_apply_kernelINS1_18TensorListMetadataILi2EEENS1_27BinaryOpScalarTensorFunctorIN3c104HalfELi2ELi1ELi1EEEJSt4plusIfEPS7_fEEEvT_T0_DpT1_,comdat
	.globl	_ZN2at6native12_GLOBAL__N_125multi_tensor_apply_kernelINS1_18TensorListMetadataILi2EEENS1_27BinaryOpScalarTensorFunctorIN3c104HalfELi2ELi1ELi1EEEJSt4plusIfEPS7_fEEEvT_T0_DpT1_ ; -- Begin function _ZN2at6native12_GLOBAL__N_125multi_tensor_apply_kernelINS1_18TensorListMetadataILi2EEENS1_27BinaryOpScalarTensorFunctorIN3c104HalfELi2ELi1ELi1EEEJSt4plusIfEPS7_fEEEvT_T0_DpT1_
	.p2align	8
	.type	_ZN2at6native12_GLOBAL__N_125multi_tensor_apply_kernelINS1_18TensorListMetadataILi2EEENS1_27BinaryOpScalarTensorFunctorIN3c104HalfELi2ELi1ELi1EEEJSt4plusIfEPS7_fEEEvT_T0_DpT1_,@function
_ZN2at6native12_GLOBAL__N_125multi_tensor_apply_kernelINS1_18TensorListMetadataILi2EEENS1_27BinaryOpScalarTensorFunctorIN3c104HalfELi2ELi1ELi1EEEJSt4plusIfEPS7_fEEEvT_T0_DpT1_: ; @_ZN2at6native12_GLOBAL__N_125multi_tensor_apply_kernelINS1_18TensorListMetadataILi2EEENS1_27BinaryOpScalarTensorFunctorIN3c104HalfELi2ELi1ELi1EEEJSt4plusIfEPS7_fEEEvT_T0_DpT1_
; %bb.0:
	v_mov_b32_e32 v1, s6
	global_load_ubyte v1, v1, s[4:5] offset:1536
	s_load_dword s22, s[4:5], 0xc58
	s_add_u32 s0, s4, s6
	s_mul_hi_u32 s2, s6, 3
	s_mul_i32 s6, s6, 3
	s_addc_u32 s7, s5, 0
	s_add_u32 s6, s0, s6
	s_addc_u32 s7, s7, s2
	s_load_dword s12, s[6:7], 0x740
	s_mov_b32 s1, 0
	s_mov_b32 s19, s1
	;; [unrolled: 1-line block ×3, first 2 shown]
	s_waitcnt lgkmcnt(0)
	s_ashr_i32 s13, s12, 31
	s_lshl_b64 s[10:11], s[12:13], 17
	s_lshl_b64 s[12:13], s[12:13], 16
	s_waitcnt vmcnt(0)
	v_readfirstlane_b32 s0, v1
	s_lshl_b32 s0, s0, 3
	s_load_dwordx2 s[16:17], s[4:5], s0 offset:0x0
	s_load_dwordx2 s[8:9], s[4:5], 0xc50
	s_load_dwordx2 s[14:15], s[4:5], s0 offset:0x400
	s_load_dwordx2 s[6:7], s[4:5], s0 offset:0x200
	s_waitcnt lgkmcnt(0)
	s_and_b32 s0, s16, 7
	s_and_b32 s18, s14, 3
	;; [unrolled: 1-line block ×3, first 2 shown]
	s_or_b64 s[18:19], s[0:1], s[18:19]
	s_or_b64 s[2:3], s[2:3], s[18:19]
	s_sub_u32 s12, s14, s12
	s_subb_u32 s13, s15, s13
	s_cmp_eq_u64 s[2:3], 0
	s_mov_b64 s[2:3], -1
	s_cbranch_scc0 .LBB22_5
; %bb.1:
	v_mov_b32_e32 v3, 0
	v_lshlrev_b32_e32 v2, 2, v0
	v_cmp_gt_i64_e32 vcc, s[12:13], v[2:3]
	s_and_saveexec_b64 s[14:15], vcc
	s_cbranch_execz .LBB22_4
; %bb.2:
	s_load_dword s0, s[4:5], 0xc6c
	v_lshlrev_b32_e32 v1, 3, v0
	v_mov_b32_e32 v2, s11
	v_add_co_u32_e32 v4, vcc, s10, v1
	s_waitcnt lgkmcnt(0)
	s_and_b32 s0, s0, 0xffff
	v_addc_co_u32_e32 v1, vcc, 0, v2, vcc
	v_add_lshl_u32 v2, v0, s0, 2
	s_lshl_b32 s23, s0, 3
	s_lshl_b32 s24, s0, 2
	s_mov_b64 s[18:19], 0
	v_mov_b32_e32 v5, s17
	v_mov_b32_e32 v8, s7
	s_mov_b64 s[20:21], 0xffff
	v_mov_b32_e32 v9, s1
	v_mov_b32_e32 v10, s1
	v_pk_mov_b32 v[6:7], v[2:3], v[2:3] op_sel:[0,1]
.LBB22_3:                               ; =>This Inner Loop Header: Depth=1
	v_add_co_u32_e32 v12, vcc, s16, v4
	v_addc_co_u32_e32 v13, vcc, v5, v1, vcc
	global_load_ushort v2, v3, s[8:9]
	global_load_dwordx2 v[14:15], v[12:13], off
	v_add_co_u32_e32 v12, vcc, s6, v4
	v_addc_co_u32_e32 v13, vcc, v8, v1, vcc
	v_cmp_le_i64_e32 vcc, s[12:13], v[6:7]
	v_cmp_lt_u64_e64 s[0:1], s[20:21], v[6:7]
	v_add_co_u32_e64 v4, s[2:3], s23, v4
	v_addc_co_u32_e64 v1, s[2:3], v1, v9, s[2:3]
	s_or_b64 s[0:1], vcc, s[0:1]
	v_add_co_u32_e64 v6, s[2:3], s24, v6
	s_and_b64 s[0:1], exec, s[0:1]
	v_addc_co_u32_e64 v7, s[2:3], v7, v10, s[2:3]
	s_or_b64 s[18:19], s[0:1], s[18:19]
	s_waitcnt vmcnt(1)
	v_cvt_f32_f16_e32 v2, v2
	s_waitcnt vmcnt(0)
	v_cvt_f32_f16_e32 v16, v15
	v_cvt_f32_f16_e32 v18, v14
	v_cvt_f32_f16_sdwa v19, v14 dst_sel:DWORD dst_unused:UNUSED_PAD src0_sel:WORD_1
	v_cvt_f32_f16_sdwa v17, v15 dst_sel:DWORD dst_unused:UNUSED_PAD src0_sel:WORD_1
	v_mul_f32_e32 v2, s22, v2
	v_pk_add_f32 v[14:15], v[2:3], v[18:19] op_sel_hi:[0,1]
	v_pk_add_f32 v[16:17], v[2:3], v[16:17] op_sel_hi:[0,1]
	v_cvt_f16_f32_e32 v2, v17
	v_cvt_f16_f32_e32 v11, v16
	;; [unrolled: 1-line block ×4, first 2 shown]
	v_pack_b32_f16 v15, v11, v2
	v_pack_b32_f16 v14, v14, v16
	global_store_dwordx2 v[12:13], v[14:15], off
	s_andn2_b64 exec, exec, s[18:19]
	s_cbranch_execnz .LBB22_3
.LBB22_4:
	s_or_b64 exec, exec, s[14:15]
	s_mov_b64 s[2:3], 0
.LBB22_5:
	s_andn2_b64 vcc, exec, s[2:3]
	s_cbranch_vccnz .LBB22_25
; %bb.6:
	v_cmp_lt_i64_e64 s[0:1], s[12:13], 1
	s_and_b64 vcc, exec, s[0:1]
	s_cbranch_vccnz .LBB22_25
; %bb.7:
	s_load_dword s0, s[4:5], 0xc6c
	v_mov_b32_e32 v4, 0x10000
	v_mov_b32_e32 v5, 0
	v_cmp_lt_u64_e32 vcc, s[12:13], v[4:5]
	v_lshlrev_b32_e32 v2, 1, v0
	s_waitcnt lgkmcnt(0)
	s_and_b32 s2, s0, 0xffff
	s_and_b64 s[0:1], vcc, exec
	v_mov_b32_e32 v15, s17
	v_add_co_u32_e32 v4, vcc, s16, v2
	v_addc_co_u32_e32 v1, vcc, 0, v15, vcc
	v_mov_b32_e32 v3, 0
	v_mov_b32_e32 v17, s7
	v_add_co_u32_e32 v6, vcc, s6, v2
	v_addc_co_u32_e32 v5, vcc, 0, v17, vcc
	v_mad_u64_u32 v[10:11], s[0:1], s2, 6, v[2:3]
	v_add_co_u32_e32 v8, vcc, s16, v10
	v_addc_co_u32_e32 v7, vcc, v15, v11, vcc
	v_add_co_u32_e32 v10, vcc, s6, v10
	s_mul_i32 s4, s2, 3
	v_addc_co_u32_e32 v9, vcc, v17, v11, vcc
	s_cselect_b32 s15, s13, 0
	s_cselect_b32 s14, s12, 0x10000
	s_lshl_b32 s21, s2, 2
	v_add_co_u32_e32 v18, vcc, s4, v0
	v_addc_co_u32_e64 v19, s[0:1], 0, 0, vcc
	v_add_co_u32_e32 v12, vcc, s21, v2
	v_addc_co_u32_e64 v13, s[0:1], 0, 0, vcc
	v_add_co_u32_e32 v2, vcc, s16, v12
	v_addc_co_u32_e32 v11, vcc, v15, v13, vcc
	v_add_co_u32_e32 v12, vcc, s6, v12
	s_lshl_b32 s3, s2, 1
	v_addc_co_u32_e32 v13, vcc, v17, v13, vcc
	v_add_co_u32_e32 v20, vcc, s3, v0
	v_addc_co_u32_e64 v21, s[0:1], 0, 0, vcc
	v_add_co_u32_e32 v22, vcc, s2, v0
	v_lshlrev_b32_e32 v16, 1, v22
	v_addc_co_u32_e64 v23, s[0:1], 0, 0, vcc
	v_add_co_u32_e32 v14, vcc, s16, v16
	v_addc_co_u32_e32 v15, vcc, 0, v15, vcc
	v_add_co_u32_e32 v16, vcc, s6, v16
	s_mov_b32 s20, 0
	s_lshl_b32 s23, s2, 3
	v_addc_co_u32_e32 v17, vcc, 0, v17, vcc
	s_mov_b64 s[16:17], 0
	s_branch .LBB22_9
.LBB22_8:                               ;   in Loop: Header=BB22_9 Depth=1
	s_or_b64 exec, exec, s[0:1]
	s_add_u32 s16, s16, s21
	s_addc_u32 s17, s17, 0
	v_pk_mov_b32 v[24:25], s[12:13], s[12:13] op_sel:[0,1]
	v_cmp_ge_i64_e32 vcc, s[16:17], v[24:25]
	v_mov_b32_e32 v24, 0xffff
	v_mov_b32_e32 v25, 0
	v_cmp_gt_u64_e64 s[0:1], s[16:17], v[24:25]
	s_or_b64 s[0:1], vcc, s[0:1]
	v_mov_b32_e32 v24, s20
	v_add_co_u32_e32 v4, vcc, s23, v4
	v_addc_co_u32_e32 v1, vcc, v1, v24, vcc
	v_add_co_u32_e32 v6, vcc, s23, v6
	v_addc_co_u32_e32 v5, vcc, v5, v24, vcc
	;; [unrolled: 2-line block ×8, first 2 shown]
	s_and_b64 vcc, exec, s[0:1]
	s_cbranch_vccnz .LBB22_25
.LBB22_9:                               ; =>This Inner Loop Header: Depth=1
	v_mov_b32_e32 v25, s17
	v_add_co_u32_e32 v24, vcc, s16, v0
	v_addc_co_u32_e32 v25, vcc, 0, v25, vcc
	v_cmp_gt_u64_e32 vcc, s[14:15], v[24:25]
	v_mov_b32_e32 v25, 0
	s_and_saveexec_b64 s[2:3], vcc
	s_cbranch_execz .LBB22_11
; %bb.10:                               ;   in Loop: Header=BB22_9 Depth=1
	v_mov_b32_e32 v25, s11
	v_add_co_u32_e64 v24, s[0:1], s10, v4
	v_addc_co_u32_e64 v25, s[0:1], v1, v25, s[0:1]
	global_load_ushort v25, v[24:25], off
.LBB22_11:                              ;   in Loop: Header=BB22_9 Depth=1
	s_or_b64 exec, exec, s[2:3]
	v_mov_b32_e32 v24, s17
	v_add_co_u32_e64 v26, s[0:1], s16, v22
	v_addc_co_u32_e64 v27, s[0:1], v23, v24, s[0:1]
	v_cmp_gt_u64_e64 s[0:1], s[14:15], v[26:27]
	v_mov_b32_e32 v24, 0
	v_mov_b32_e32 v26, 0
	s_and_saveexec_b64 s[4:5], s[0:1]
	s_cbranch_execz .LBB22_13
; %bb.12:                               ;   in Loop: Header=BB22_9 Depth=1
	v_mov_b32_e32 v27, s11
	v_add_co_u32_e64 v26, s[2:3], s10, v14
	v_addc_co_u32_e64 v27, s[2:3], v15, v27, s[2:3]
	global_load_ushort v26, v[26:27], off
.LBB22_13:                              ;   in Loop: Header=BB22_9 Depth=1
	s_or_b64 exec, exec, s[4:5]
	v_mov_b32_e32 v27, s17
	v_add_co_u32_e64 v28, s[2:3], s16, v20
	v_addc_co_u32_e64 v29, s[2:3], v21, v27, s[2:3]
	v_cmp_gt_u64_e64 s[2:3], s[14:15], v[28:29]
	s_and_saveexec_b64 s[6:7], s[2:3]
	s_cbranch_execz .LBB22_15
; %bb.14:                               ;   in Loop: Header=BB22_9 Depth=1
	v_mov_b32_e32 v24, s11
	v_add_co_u32_e64 v28, s[4:5], s10, v2
	v_addc_co_u32_e64 v29, s[4:5], v11, v24, s[4:5]
	global_load_ushort v24, v[28:29], off
.LBB22_15:                              ;   in Loop: Header=BB22_9 Depth=1
	s_or_b64 exec, exec, s[6:7]
	v_mov_b32_e32 v27, s17
	v_add_co_u32_e64 v28, s[4:5], s16, v18
	v_addc_co_u32_e64 v29, s[4:5], v19, v27, s[4:5]
	v_cmp_gt_u64_e64 s[4:5], s[14:15], v[28:29]
	v_mov_b32_e32 v27, 0
	s_and_saveexec_b64 s[18:19], s[4:5]
	s_cbranch_execz .LBB22_17
; %bb.16:                               ;   in Loop: Header=BB22_9 Depth=1
	v_mov_b32_e32 v27, s11
	v_add_co_u32_e64 v28, s[6:7], s10, v8
	v_addc_co_u32_e64 v29, s[6:7], v7, v27, s[6:7]
	global_load_ushort v27, v[28:29], off
.LBB22_17:                              ;   in Loop: Header=BB22_9 Depth=1
	s_or_b64 exec, exec, s[18:19]
	global_load_ushort v28, v3, s[8:9]
	s_waitcnt vmcnt(0)
	v_cvt_f32_f16_e32 v28, v28
	v_mul_f32_e32 v28, s22, v28
	s_and_saveexec_b64 s[6:7], vcc
	s_cbranch_execnz .LBB22_21
; %bb.18:                               ;   in Loop: Header=BB22_9 Depth=1
	s_or_b64 exec, exec, s[6:7]
	s_and_saveexec_b64 s[6:7], s[0:1]
	s_cbranch_execnz .LBB22_22
.LBB22_19:                              ;   in Loop: Header=BB22_9 Depth=1
	s_or_b64 exec, exec, s[6:7]
	s_and_saveexec_b64 s[0:1], s[2:3]
	s_cbranch_execnz .LBB22_23
.LBB22_20:                              ;   in Loop: Header=BB22_9 Depth=1
	s_or_b64 exec, exec, s[0:1]
	s_and_saveexec_b64 s[0:1], s[4:5]
	s_cbranch_execz .LBB22_8
	s_branch .LBB22_24
.LBB22_21:                              ;   in Loop: Header=BB22_9 Depth=1
	v_cvt_f32_f16_e32 v25, v25
	v_mov_b32_e32 v29, s11
	v_add_co_u32_e32 v30, vcc, s10, v6
	v_add_f32_e32 v25, v28, v25
	v_cvt_f16_f32_e32 v25, v25
	v_addc_co_u32_e32 v31, vcc, v5, v29, vcc
	global_store_short v[30:31], v25, off
	s_or_b64 exec, exec, s[6:7]
	s_and_saveexec_b64 s[6:7], s[0:1]
	s_cbranch_execz .LBB22_19
.LBB22_22:                              ;   in Loop: Header=BB22_9 Depth=1
	v_cvt_f32_f16_e32 v25, v26
	v_mov_b32_e32 v26, s11
	v_add_co_u32_e32 v30, vcc, s10, v16
	v_add_f32_e32 v25, v28, v25
	v_cvt_f16_f32_e32 v25, v25
	v_addc_co_u32_e32 v31, vcc, v17, v26, vcc
	global_store_short v[30:31], v25, off
	s_or_b64 exec, exec, s[6:7]
	s_and_saveexec_b64 s[0:1], s[2:3]
	s_cbranch_execz .LBB22_20
.LBB22_23:                              ;   in Loop: Header=BB22_9 Depth=1
	v_cvt_f32_f16_e32 v24, v24
	v_mov_b32_e32 v25, s11
	v_add_f32_e32 v24, v28, v24
	v_cvt_f16_f32_e32 v26, v24
	v_add_co_u32_e32 v24, vcc, s10, v12
	v_addc_co_u32_e32 v25, vcc, v13, v25, vcc
	global_store_short v[24:25], v26, off
	s_or_b64 exec, exec, s[0:1]
	s_and_saveexec_b64 s[0:1], s[4:5]
	s_cbranch_execz .LBB22_8
.LBB22_24:                              ;   in Loop: Header=BB22_9 Depth=1
	v_cvt_f32_f16_e32 v24, v27
	v_mov_b32_e32 v25, s11
	v_add_f32_e32 v24, v28, v24
	v_cvt_f16_f32_e32 v26, v24
	v_add_co_u32_e32 v24, vcc, s10, v10
	v_addc_co_u32_e32 v25, vcc, v9, v25, vcc
	global_store_short v[24:25], v26, off
	s_branch .LBB22_8
.LBB22_25:
	s_endpgm
	.section	.rodata,"a",@progbits
	.p2align	6, 0x0
	.amdhsa_kernel _ZN2at6native12_GLOBAL__N_125multi_tensor_apply_kernelINS1_18TensorListMetadataILi2EEENS1_27BinaryOpScalarTensorFunctorIN3c104HalfELi2ELi1ELi1EEEJSt4plusIfEPS7_fEEEvT_T0_DpT1_
		.amdhsa_group_segment_fixed_size 0
		.amdhsa_private_segment_fixed_size 0
		.amdhsa_kernarg_size 3424
		.amdhsa_user_sgpr_count 6
		.amdhsa_user_sgpr_private_segment_buffer 1
		.amdhsa_user_sgpr_dispatch_ptr 0
		.amdhsa_user_sgpr_queue_ptr 0
		.amdhsa_user_sgpr_kernarg_segment_ptr 1
		.amdhsa_user_sgpr_dispatch_id 0
		.amdhsa_user_sgpr_flat_scratch_init 0
		.amdhsa_user_sgpr_kernarg_preload_length 0
		.amdhsa_user_sgpr_kernarg_preload_offset 0
		.amdhsa_user_sgpr_private_segment_size 0
		.amdhsa_uses_dynamic_stack 0
		.amdhsa_system_sgpr_private_segment_wavefront_offset 0
		.amdhsa_system_sgpr_workgroup_id_x 1
		.amdhsa_system_sgpr_workgroup_id_y 0
		.amdhsa_system_sgpr_workgroup_id_z 0
		.amdhsa_system_sgpr_workgroup_info 0
		.amdhsa_system_vgpr_workitem_id 0
		.amdhsa_next_free_vgpr 32
		.amdhsa_next_free_sgpr 25
		.amdhsa_accum_offset 32
		.amdhsa_reserve_vcc 1
		.amdhsa_reserve_flat_scratch 0
		.amdhsa_float_round_mode_32 0
		.amdhsa_float_round_mode_16_64 0
		.amdhsa_float_denorm_mode_32 3
		.amdhsa_float_denorm_mode_16_64 3
		.amdhsa_dx10_clamp 1
		.amdhsa_ieee_mode 1
		.amdhsa_fp16_overflow 0
		.amdhsa_tg_split 0
		.amdhsa_exception_fp_ieee_invalid_op 0
		.amdhsa_exception_fp_denorm_src 0
		.amdhsa_exception_fp_ieee_div_zero 0
		.amdhsa_exception_fp_ieee_overflow 0
		.amdhsa_exception_fp_ieee_underflow 0
		.amdhsa_exception_fp_ieee_inexact 0
		.amdhsa_exception_int_div_zero 0
	.end_amdhsa_kernel
	.section	.text._ZN2at6native12_GLOBAL__N_125multi_tensor_apply_kernelINS1_18TensorListMetadataILi2EEENS1_27BinaryOpScalarTensorFunctorIN3c104HalfELi2ELi1ELi1EEEJSt4plusIfEPS7_fEEEvT_T0_DpT1_,"axG",@progbits,_ZN2at6native12_GLOBAL__N_125multi_tensor_apply_kernelINS1_18TensorListMetadataILi2EEENS1_27BinaryOpScalarTensorFunctorIN3c104HalfELi2ELi1ELi1EEEJSt4plusIfEPS7_fEEEvT_T0_DpT1_,comdat
.Lfunc_end22:
	.size	_ZN2at6native12_GLOBAL__N_125multi_tensor_apply_kernelINS1_18TensorListMetadataILi2EEENS1_27BinaryOpScalarTensorFunctorIN3c104HalfELi2ELi1ELi1EEEJSt4plusIfEPS7_fEEEvT_T0_DpT1_, .Lfunc_end22-_ZN2at6native12_GLOBAL__N_125multi_tensor_apply_kernelINS1_18TensorListMetadataILi2EEENS1_27BinaryOpScalarTensorFunctorIN3c104HalfELi2ELi1ELi1EEEJSt4plusIfEPS7_fEEEvT_T0_DpT1_
                                        ; -- End function
	.section	.AMDGPU.csdata,"",@progbits
; Kernel info:
; codeLenInByte = 1360
; NumSgprs: 29
; NumVgprs: 32
; NumAgprs: 0
; TotalNumVgprs: 32
; ScratchSize: 0
; MemoryBound: 0
; FloatMode: 240
; IeeeMode: 1
; LDSByteSize: 0 bytes/workgroup (compile time only)
; SGPRBlocks: 3
; VGPRBlocks: 3
; NumSGPRsForWavesPerEU: 29
; NumVGPRsForWavesPerEU: 32
; AccumOffset: 32
; Occupancy: 8
; WaveLimiterHint : 0
; COMPUTE_PGM_RSRC2:SCRATCH_EN: 0
; COMPUTE_PGM_RSRC2:USER_SGPR: 6
; COMPUTE_PGM_RSRC2:TRAP_HANDLER: 0
; COMPUTE_PGM_RSRC2:TGID_X_EN: 1
; COMPUTE_PGM_RSRC2:TGID_Y_EN: 0
; COMPUTE_PGM_RSRC2:TGID_Z_EN: 0
; COMPUTE_PGM_RSRC2:TIDIG_COMP_CNT: 0
; COMPUTE_PGM_RSRC3_GFX90A:ACCUM_OFFSET: 7
; COMPUTE_PGM_RSRC3_GFX90A:TG_SPLIT: 0
	.section	.text._ZN2at6native12_GLOBAL__N_125multi_tensor_apply_kernelINS1_18TensorListMetadataILi2EEENS1_27BinaryOpScalarTensorFunctorIN3c108BFloat16ELi2ELi1ELi1EEEJSt4plusIfEPS7_fEEEvT_T0_DpT1_,"axG",@progbits,_ZN2at6native12_GLOBAL__N_125multi_tensor_apply_kernelINS1_18TensorListMetadataILi2EEENS1_27BinaryOpScalarTensorFunctorIN3c108BFloat16ELi2ELi1ELi1EEEJSt4plusIfEPS7_fEEEvT_T0_DpT1_,comdat
	.globl	_ZN2at6native12_GLOBAL__N_125multi_tensor_apply_kernelINS1_18TensorListMetadataILi2EEENS1_27BinaryOpScalarTensorFunctorIN3c108BFloat16ELi2ELi1ELi1EEEJSt4plusIfEPS7_fEEEvT_T0_DpT1_ ; -- Begin function _ZN2at6native12_GLOBAL__N_125multi_tensor_apply_kernelINS1_18TensorListMetadataILi2EEENS1_27BinaryOpScalarTensorFunctorIN3c108BFloat16ELi2ELi1ELi1EEEJSt4plusIfEPS7_fEEEvT_T0_DpT1_
	.p2align	8
	.type	_ZN2at6native12_GLOBAL__N_125multi_tensor_apply_kernelINS1_18TensorListMetadataILi2EEENS1_27BinaryOpScalarTensorFunctorIN3c108BFloat16ELi2ELi1ELi1EEEJSt4plusIfEPS7_fEEEvT_T0_DpT1_,@function
_ZN2at6native12_GLOBAL__N_125multi_tensor_apply_kernelINS1_18TensorListMetadataILi2EEENS1_27BinaryOpScalarTensorFunctorIN3c108BFloat16ELi2ELi1ELi1EEEJSt4plusIfEPS7_fEEEvT_T0_DpT1_: ; @_ZN2at6native12_GLOBAL__N_125multi_tensor_apply_kernelINS1_18TensorListMetadataILi2EEENS1_27BinaryOpScalarTensorFunctorIN3c108BFloat16ELi2ELi1ELi1EEEJSt4plusIfEPS7_fEEEvT_T0_DpT1_
; %bb.0:
	v_mov_b32_e32 v1, s6
	global_load_ubyte v1, v1, s[4:5] offset:1536
	s_load_dword s22, s[4:5], 0xc58
	s_add_u32 s0, s4, s6
	s_mul_hi_u32 s2, s6, 3
	s_mul_i32 s6, s6, 3
	s_addc_u32 s7, s5, 0
	s_add_u32 s6, s0, s6
	s_addc_u32 s7, s7, s2
	s_load_dword s12, s[6:7], 0x740
	s_mov_b32 s1, 0
	s_mov_b32 s19, s1
	;; [unrolled: 1-line block ×3, first 2 shown]
	s_waitcnt lgkmcnt(0)
	s_ashr_i32 s13, s12, 31
	s_lshl_b64 s[10:11], s[12:13], 17
	s_lshl_b64 s[12:13], s[12:13], 16
	s_waitcnt vmcnt(0)
	v_readfirstlane_b32 s0, v1
	s_lshl_b32 s0, s0, 3
	s_load_dwordx2 s[16:17], s[4:5], s0 offset:0x0
	s_load_dwordx2 s[8:9], s[4:5], 0xc50
	s_load_dwordx2 s[14:15], s[4:5], s0 offset:0x400
	s_load_dwordx2 s[6:7], s[4:5], s0 offset:0x200
	s_waitcnt lgkmcnt(0)
	s_and_b32 s0, s16, 7
	s_and_b32 s18, s14, 3
	;; [unrolled: 1-line block ×3, first 2 shown]
	s_or_b64 s[18:19], s[0:1], s[18:19]
	s_or_b64 s[2:3], s[2:3], s[18:19]
	s_sub_u32 s12, s14, s12
	s_subb_u32 s13, s15, s13
	s_cmp_eq_u64 s[2:3], 0
	s_mov_b64 s[2:3], -1
	s_cbranch_scc0 .LBB23_5
; %bb.1:
	v_mov_b32_e32 v3, 0
	v_lshlrev_b32_e32 v2, 2, v0
	v_cmp_gt_i64_e32 vcc, s[12:13], v[2:3]
	s_and_saveexec_b64 s[14:15], vcc
	s_cbranch_execz .LBB23_4
; %bb.2:
	s_load_dword s0, s[4:5], 0xc6c
	v_lshlrev_b32_e32 v1, 3, v0
	v_mov_b32_e32 v2, s11
	v_add_co_u32_e32 v4, vcc, s10, v1
	s_waitcnt lgkmcnt(0)
	s_and_b32 s0, s0, 0xffff
	v_addc_co_u32_e32 v1, vcc, 0, v2, vcc
	v_add_lshl_u32 v2, v0, s0, 2
	s_lshl_b32 s23, s0, 3
	s_lshl_b32 s24, s0, 2
	s_mov_b64 s[18:19], 0
	v_mov_b32_e32 v5, s17
	s_movk_i32 s25, 0x7fff
	v_mov_b32_e32 v8, s7
	v_mov_b32_e32 v9, 0x7fc00000
	;; [unrolled: 1-line block ×3, first 2 shown]
	s_mov_b64 s[20:21], 0xffff
	v_mov_b32_e32 v11, s1
	v_mov_b32_e32 v12, s1
	v_pk_mov_b32 v[6:7], v[2:3], v[2:3] op_sel:[0,1]
.LBB23_3:                               ; =>This Inner Loop Header: Depth=1
	v_add_co_u32_e32 v14, vcc, s16, v4
	v_addc_co_u32_e32 v15, vcc, v5, v1, vcc
	global_load_ushort v2, v3, s[8:9]
	global_load_dwordx2 v[16:17], v[14:15], off
	v_add_co_u32_e32 v14, vcc, s6, v4
	v_addc_co_u32_e32 v15, vcc, v8, v1, vcc
	v_cmp_le_i64_e32 vcc, s[12:13], v[6:7]
	v_cmp_lt_u64_e64 s[0:1], s[20:21], v[6:7]
	v_add_co_u32_e64 v4, s[2:3], s23, v4
	v_addc_co_u32_e64 v1, s[2:3], v1, v11, s[2:3]
	s_or_b64 s[0:1], vcc, s[0:1]
	v_add_co_u32_e64 v6, s[2:3], s24, v6
	s_and_b64 s[0:1], exec, s[0:1]
	v_addc_co_u32_e64 v7, s[2:3], v7, v12, s[2:3]
	s_or_b64 s[18:19], s[0:1], s[18:19]
	s_waitcnt vmcnt(1)
	v_lshlrev_b32_e32 v2, 16, v2
	s_waitcnt vmcnt(0)
	v_and_b32_e32 v13, 0xffff0000, v16
	v_lshlrev_b32_e32 v18, 16, v16
	v_alignbit_b32 v16, v17, v16, 16
	v_and_b32_e32 v17, 0xffff0000, v17
	v_fmac_f32_e32 v18, s22, v2
	v_fmac_f32_e32 v13, s22, v2
	v_and_b32_e32 v16, 0xffff0000, v16
	v_fmac_f32_e32 v17, s22, v2
	v_bfe_u32 v19, v18, 16, 1
	v_bfe_u32 v20, v13, 16, 1
	v_fmac_f32_e32 v16, s22, v2
	v_bfe_u32 v2, v17, 16, 1
	v_add3_u32 v19, v18, v19, s25
	v_add3_u32 v20, v13, v20, s25
	v_bfe_u32 v21, v16, 16, 1
	v_add3_u32 v2, v17, v2, s25
	v_lshrrev_b32_e32 v19, 16, v19
	v_and_b32_e32 v20, 0xffff0000, v20
	v_add3_u32 v21, v16, v21, s25
	v_cmp_o_f32_e32 vcc, v13, v13
	v_cmp_o_f32_e64 s[0:1], v18, v18
	v_and_b32_e32 v2, 0xffff0000, v2
	v_cmp_o_f32_e64 s[2:3], v17, v17
	v_lshrrev_b32_e32 v13, 16, v21
	v_cndmask_b32_e32 v17, v9, v20, vcc
	v_cndmask_b32_e64 v18, v10, v19, s[0:1]
	v_cmp_o_f32_e32 vcc, v16, v16
	v_cndmask_b32_e64 v2, v9, v2, s[2:3]
	v_cndmask_b32_e32 v13, v10, v13, vcc
	v_or_b32_e32 v16, v18, v17
	v_or3_b32 v17, 0, v13, v2
	v_or3_b32 v16, v16, 0, 0
	global_store_dwordx2 v[14:15], v[16:17], off
	s_andn2_b64 exec, exec, s[18:19]
	s_cbranch_execnz .LBB23_3
.LBB23_4:
	s_or_b64 exec, exec, s[14:15]
	s_mov_b64 s[2:3], 0
.LBB23_5:
	s_andn2_b64 vcc, exec, s[2:3]
	s_cbranch_vccnz .LBB23_25
; %bb.6:
	v_cmp_lt_i64_e64 s[0:1], s[12:13], 1
	s_and_b64 vcc, exec, s[0:1]
	s_cbranch_vccnz .LBB23_25
; %bb.7:
	s_load_dword s0, s[4:5], 0xc6c
	v_mov_b32_e32 v4, 0x10000
	v_mov_b32_e32 v5, 0
	v_cmp_lt_u64_e32 vcc, s[12:13], v[4:5]
	v_lshlrev_b32_e32 v2, 1, v0
	s_waitcnt lgkmcnt(0)
	s_and_b32 s2, s0, 0xffff
	s_and_b64 s[0:1], vcc, exec
	v_mov_b32_e32 v15, s17
	v_add_co_u32_e32 v4, vcc, s16, v2
	v_addc_co_u32_e32 v1, vcc, 0, v15, vcc
	v_mov_b32_e32 v3, 0
	v_mov_b32_e32 v17, s7
	v_add_co_u32_e32 v6, vcc, s6, v2
	v_addc_co_u32_e32 v5, vcc, 0, v17, vcc
	v_mad_u64_u32 v[10:11], s[0:1], s2, 6, v[2:3]
	v_add_co_u32_e32 v8, vcc, s16, v10
	v_addc_co_u32_e32 v7, vcc, v15, v11, vcc
	v_add_co_u32_e32 v10, vcc, s6, v10
	s_mul_i32 s4, s2, 3
	v_addc_co_u32_e32 v9, vcc, v17, v11, vcc
	s_cselect_b32 s15, s13, 0
	s_cselect_b32 s14, s12, 0x10000
	s_lshl_b32 s21, s2, 2
	v_add_co_u32_e32 v18, vcc, s4, v0
	v_addc_co_u32_e64 v19, s[0:1], 0, 0, vcc
	v_add_co_u32_e32 v12, vcc, s21, v2
	v_addc_co_u32_e64 v13, s[0:1], 0, 0, vcc
	v_add_co_u32_e32 v2, vcc, s16, v12
	v_addc_co_u32_e32 v11, vcc, v15, v13, vcc
	v_add_co_u32_e32 v12, vcc, s6, v12
	s_lshl_b32 s3, s2, 1
	v_addc_co_u32_e32 v13, vcc, v17, v13, vcc
	v_add_co_u32_e32 v20, vcc, s3, v0
	v_addc_co_u32_e64 v21, s[0:1], 0, 0, vcc
	v_add_co_u32_e32 v22, vcc, s2, v0
	v_lshlrev_b32_e32 v16, 1, v22
	v_addc_co_u32_e64 v23, s[0:1], 0, 0, vcc
	v_add_co_u32_e32 v14, vcc, s16, v16
	v_addc_co_u32_e32 v15, vcc, 0, v15, vcc
	v_add_co_u32_e32 v16, vcc, s6, v16
	s_mov_b32 s20, 0
	s_lshl_b32 s23, s2, 3
	v_addc_co_u32_e32 v17, vcc, 0, v17, vcc
	s_mov_b64 s[16:17], 0
	s_movk_i32 s24, 0x7fff
	v_mov_b32_e32 v24, 0x7fc0
	s_branch .LBB23_9
.LBB23_8:                               ;   in Loop: Header=BB23_9 Depth=1
	s_or_b64 exec, exec, s[0:1]
	s_add_u32 s16, s16, s21
	s_addc_u32 s17, s17, 0
	v_pk_mov_b32 v[26:27], s[12:13], s[12:13] op_sel:[0,1]
	v_cmp_ge_i64_e32 vcc, s[16:17], v[26:27]
	v_mov_b32_e32 v26, 0xffff
	v_mov_b32_e32 v27, 0
	v_cmp_gt_u64_e64 s[0:1], s[16:17], v[26:27]
	s_or_b64 s[0:1], vcc, s[0:1]
	v_mov_b32_e32 v25, s20
	v_add_co_u32_e32 v4, vcc, s23, v4
	v_addc_co_u32_e32 v1, vcc, v1, v25, vcc
	v_add_co_u32_e32 v6, vcc, s23, v6
	v_addc_co_u32_e32 v5, vcc, v5, v25, vcc
	;; [unrolled: 2-line block ×8, first 2 shown]
	s_and_b64 vcc, exec, s[0:1]
	s_cbranch_vccnz .LBB23_25
.LBB23_9:                               ; =>This Inner Loop Header: Depth=1
	v_mov_b32_e32 v25, s17
	v_add_co_u32_e32 v26, vcc, s16, v0
	v_addc_co_u32_e32 v27, vcc, 0, v25, vcc
	v_cmp_gt_u64_e32 vcc, s[14:15], v[26:27]
	v_mov_b32_e32 v26, 0
	s_and_saveexec_b64 s[2:3], vcc
	s_cbranch_execz .LBB23_11
; %bb.10:                               ;   in Loop: Header=BB23_9 Depth=1
	v_mov_b32_e32 v25, s11
	v_add_co_u32_e64 v26, s[0:1], s10, v4
	v_addc_co_u32_e64 v27, s[0:1], v1, v25, s[0:1]
	global_load_ushort v26, v[26:27], off
.LBB23_11:                              ;   in Loop: Header=BB23_9 Depth=1
	s_or_b64 exec, exec, s[2:3]
	v_mov_b32_e32 v25, s17
	v_add_co_u32_e64 v28, s[0:1], s16, v22
	v_addc_co_u32_e64 v29, s[0:1], v23, v25, s[0:1]
	v_cmp_gt_u64_e64 s[0:1], s[14:15], v[28:29]
	v_mov_b32_e32 v25, 0
	v_mov_b32_e32 v27, 0
	s_and_saveexec_b64 s[4:5], s[0:1]
	s_cbranch_execz .LBB23_13
; %bb.12:                               ;   in Loop: Header=BB23_9 Depth=1
	v_mov_b32_e32 v27, s11
	v_add_co_u32_e64 v28, s[2:3], s10, v14
	v_addc_co_u32_e64 v29, s[2:3], v15, v27, s[2:3]
	global_load_ushort v27, v[28:29], off
.LBB23_13:                              ;   in Loop: Header=BB23_9 Depth=1
	s_or_b64 exec, exec, s[4:5]
	v_mov_b32_e32 v29, s17
	v_add_co_u32_e64 v28, s[2:3], s16, v20
	v_addc_co_u32_e64 v29, s[2:3], v21, v29, s[2:3]
	v_cmp_gt_u64_e64 s[2:3], s[14:15], v[28:29]
	s_and_saveexec_b64 s[6:7], s[2:3]
	s_cbranch_execz .LBB23_15
; %bb.14:                               ;   in Loop: Header=BB23_9 Depth=1
	v_mov_b32_e32 v25, s11
	v_add_co_u32_e64 v28, s[4:5], s10, v2
	v_addc_co_u32_e64 v29, s[4:5], v11, v25, s[4:5]
	global_load_ushort v25, v[28:29], off
.LBB23_15:                              ;   in Loop: Header=BB23_9 Depth=1
	s_or_b64 exec, exec, s[6:7]
	v_mov_b32_e32 v29, s17
	v_add_co_u32_e64 v28, s[4:5], s16, v18
	v_addc_co_u32_e64 v29, s[4:5], v19, v29, s[4:5]
	v_cmp_gt_u64_e64 s[4:5], s[14:15], v[28:29]
	v_mov_b32_e32 v28, 0
	s_and_saveexec_b64 s[18:19], s[4:5]
	s_cbranch_execz .LBB23_17
; %bb.16:                               ;   in Loop: Header=BB23_9 Depth=1
	v_mov_b32_e32 v29, s11
	v_add_co_u32_e64 v28, s[6:7], s10, v8
	v_addc_co_u32_e64 v29, s[6:7], v7, v29, s[6:7]
	global_load_ushort v28, v[28:29], off
.LBB23_17:                              ;   in Loop: Header=BB23_9 Depth=1
	s_or_b64 exec, exec, s[18:19]
	global_load_ushort v29, v3, s[8:9]
	s_waitcnt vmcnt(0)
	v_lshlrev_b32_e32 v29, 16, v29
	v_mul_f32_e32 v29, s22, v29
	s_and_saveexec_b64 s[6:7], vcc
	s_cbranch_execnz .LBB23_21
; %bb.18:                               ;   in Loop: Header=BB23_9 Depth=1
	s_or_b64 exec, exec, s[6:7]
	s_and_saveexec_b64 s[6:7], s[0:1]
	s_cbranch_execnz .LBB23_22
.LBB23_19:                              ;   in Loop: Header=BB23_9 Depth=1
	s_or_b64 exec, exec, s[6:7]
	s_and_saveexec_b64 s[0:1], s[2:3]
	s_cbranch_execnz .LBB23_23
.LBB23_20:                              ;   in Loop: Header=BB23_9 Depth=1
	s_or_b64 exec, exec, s[0:1]
	s_and_saveexec_b64 s[0:1], s[4:5]
	s_cbranch_execz .LBB23_8
	s_branch .LBB23_24
.LBB23_21:                              ;   in Loop: Header=BB23_9 Depth=1
	v_lshlrev_b32_e32 v26, 16, v26
	v_add_f32_e32 v26, v29, v26
	v_bfe_u32 v30, v26, 16, 1
	v_add3_u32 v30, v26, v30, s24
	v_lshrrev_b32_e32 v30, 16, v30
	v_cmp_o_f32_e32 vcc, v26, v26
	v_cndmask_b32_e32 v26, v24, v30, vcc
	v_mov_b32_e32 v31, s11
	v_add_co_u32_e32 v30, vcc, s10, v6
	v_addc_co_u32_e32 v31, vcc, v5, v31, vcc
	global_store_short v[30:31], v26, off
	s_or_b64 exec, exec, s[6:7]
	s_and_saveexec_b64 s[6:7], s[0:1]
	s_cbranch_execz .LBB23_19
.LBB23_22:                              ;   in Loop: Header=BB23_9 Depth=1
	v_lshlrev_b32_e32 v26, 16, v27
	v_add_f32_e32 v26, v29, v26
	v_bfe_u32 v27, v26, 16, 1
	v_add3_u32 v27, v26, v27, s24
	v_lshrrev_b32_e32 v27, 16, v27
	v_cmp_o_f32_e32 vcc, v26, v26
	v_cndmask_b32_e32 v30, v24, v27, vcc
	v_mov_b32_e32 v27, s11
	v_add_co_u32_e32 v26, vcc, s10, v16
	v_addc_co_u32_e32 v27, vcc, v17, v27, vcc
	global_store_short v[26:27], v30, off
	s_or_b64 exec, exec, s[6:7]
	s_and_saveexec_b64 s[0:1], s[2:3]
	s_cbranch_execz .LBB23_20
.LBB23_23:                              ;   in Loop: Header=BB23_9 Depth=1
	v_lshlrev_b32_e32 v25, 16, v25
	v_add_f32_e32 v25, v29, v25
	v_bfe_u32 v26, v25, 16, 1
	v_add3_u32 v26, v25, v26, s24
	v_lshrrev_b32_e32 v26, 16, v26
	v_cmp_o_f32_e32 vcc, v25, v25
	v_cndmask_b32_e32 v25, v24, v26, vcc
	v_mov_b32_e32 v27, s11
	v_add_co_u32_e32 v26, vcc, s10, v12
	v_addc_co_u32_e32 v27, vcc, v13, v27, vcc
	global_store_short v[26:27], v25, off
	s_or_b64 exec, exec, s[0:1]
	s_and_saveexec_b64 s[0:1], s[4:5]
	s_cbranch_execz .LBB23_8
.LBB23_24:                              ;   in Loop: Header=BB23_9 Depth=1
	v_lshlrev_b32_e32 v25, 16, v28
	v_add_f32_e32 v25, v29, v25
	v_bfe_u32 v26, v25, 16, 1
	v_add3_u32 v26, v25, v26, s24
	v_lshrrev_b32_e32 v26, 16, v26
	v_cmp_o_f32_e32 vcc, v25, v25
	v_cndmask_b32_e32 v25, v24, v26, vcc
	v_mov_b32_e32 v27, s11
	v_add_co_u32_e32 v26, vcc, s10, v10
	v_addc_co_u32_e32 v27, vcc, v9, v27, vcc
	global_store_short v[26:27], v25, off
	s_branch .LBB23_8
.LBB23_25:
	s_endpgm
	.section	.rodata,"a",@progbits
	.p2align	6, 0x0
	.amdhsa_kernel _ZN2at6native12_GLOBAL__N_125multi_tensor_apply_kernelINS1_18TensorListMetadataILi2EEENS1_27BinaryOpScalarTensorFunctorIN3c108BFloat16ELi2ELi1ELi1EEEJSt4plusIfEPS7_fEEEvT_T0_DpT1_
		.amdhsa_group_segment_fixed_size 0
		.amdhsa_private_segment_fixed_size 0
		.amdhsa_kernarg_size 3424
		.amdhsa_user_sgpr_count 6
		.amdhsa_user_sgpr_private_segment_buffer 1
		.amdhsa_user_sgpr_dispatch_ptr 0
		.amdhsa_user_sgpr_queue_ptr 0
		.amdhsa_user_sgpr_kernarg_segment_ptr 1
		.amdhsa_user_sgpr_dispatch_id 0
		.amdhsa_user_sgpr_flat_scratch_init 0
		.amdhsa_user_sgpr_kernarg_preload_length 0
		.amdhsa_user_sgpr_kernarg_preload_offset 0
		.amdhsa_user_sgpr_private_segment_size 0
		.amdhsa_uses_dynamic_stack 0
		.amdhsa_system_sgpr_private_segment_wavefront_offset 0
		.amdhsa_system_sgpr_workgroup_id_x 1
		.amdhsa_system_sgpr_workgroup_id_y 0
		.amdhsa_system_sgpr_workgroup_id_z 0
		.amdhsa_system_sgpr_workgroup_info 0
		.amdhsa_system_vgpr_workitem_id 0
		.amdhsa_next_free_vgpr 32
		.amdhsa_next_free_sgpr 26
		.amdhsa_accum_offset 32
		.amdhsa_reserve_vcc 1
		.amdhsa_reserve_flat_scratch 0
		.amdhsa_float_round_mode_32 0
		.amdhsa_float_round_mode_16_64 0
		.amdhsa_float_denorm_mode_32 3
		.amdhsa_float_denorm_mode_16_64 3
		.amdhsa_dx10_clamp 1
		.amdhsa_ieee_mode 1
		.amdhsa_fp16_overflow 0
		.amdhsa_tg_split 0
		.amdhsa_exception_fp_ieee_invalid_op 0
		.amdhsa_exception_fp_denorm_src 0
		.amdhsa_exception_fp_ieee_div_zero 0
		.amdhsa_exception_fp_ieee_overflow 0
		.amdhsa_exception_fp_ieee_underflow 0
		.amdhsa_exception_fp_ieee_inexact 0
		.amdhsa_exception_int_div_zero 0
	.end_amdhsa_kernel
	.section	.text._ZN2at6native12_GLOBAL__N_125multi_tensor_apply_kernelINS1_18TensorListMetadataILi2EEENS1_27BinaryOpScalarTensorFunctorIN3c108BFloat16ELi2ELi1ELi1EEEJSt4plusIfEPS7_fEEEvT_T0_DpT1_,"axG",@progbits,_ZN2at6native12_GLOBAL__N_125multi_tensor_apply_kernelINS1_18TensorListMetadataILi2EEENS1_27BinaryOpScalarTensorFunctorIN3c108BFloat16ELi2ELi1ELi1EEEJSt4plusIfEPS7_fEEEvT_T0_DpT1_,comdat
.Lfunc_end23:
	.size	_ZN2at6native12_GLOBAL__N_125multi_tensor_apply_kernelINS1_18TensorListMetadataILi2EEENS1_27BinaryOpScalarTensorFunctorIN3c108BFloat16ELi2ELi1ELi1EEEJSt4plusIfEPS7_fEEEvT_T0_DpT1_, .Lfunc_end23-_ZN2at6native12_GLOBAL__N_125multi_tensor_apply_kernelINS1_18TensorListMetadataILi2EEENS1_27BinaryOpScalarTensorFunctorIN3c108BFloat16ELi2ELi1ELi1EEEJSt4plusIfEPS7_fEEEvT_T0_DpT1_
                                        ; -- End function
	.section	.AMDGPU.csdata,"",@progbits
; Kernel info:
; codeLenInByte = 1620
; NumSgprs: 30
; NumVgprs: 32
; NumAgprs: 0
; TotalNumVgprs: 32
; ScratchSize: 0
; MemoryBound: 0
; FloatMode: 240
; IeeeMode: 1
; LDSByteSize: 0 bytes/workgroup (compile time only)
; SGPRBlocks: 3
; VGPRBlocks: 3
; NumSGPRsForWavesPerEU: 30
; NumVGPRsForWavesPerEU: 32
; AccumOffset: 32
; Occupancy: 8
; WaveLimiterHint : 0
; COMPUTE_PGM_RSRC2:SCRATCH_EN: 0
; COMPUTE_PGM_RSRC2:USER_SGPR: 6
; COMPUTE_PGM_RSRC2:TRAP_HANDLER: 0
; COMPUTE_PGM_RSRC2:TGID_X_EN: 1
; COMPUTE_PGM_RSRC2:TGID_Y_EN: 0
; COMPUTE_PGM_RSRC2:TGID_Z_EN: 0
; COMPUTE_PGM_RSRC2:TIDIG_COMP_CNT: 0
; COMPUTE_PGM_RSRC3_GFX90A:ACCUM_OFFSET: 7
; COMPUTE_PGM_RSRC3_GFX90A:TG_SPLIT: 0
	.section	.text._ZN2at6native12_GLOBAL__N_125multi_tensor_apply_kernelINS1_18TensorListMetadataILi1EEENS1_27BinaryOpScalarTensorFunctorIhLi1ELi1ELi0EEEJSt10multipliesIhEPhhEEEvT_T0_DpT1_,"axG",@progbits,_ZN2at6native12_GLOBAL__N_125multi_tensor_apply_kernelINS1_18TensorListMetadataILi1EEENS1_27BinaryOpScalarTensorFunctorIhLi1ELi1ELi0EEEJSt10multipliesIhEPhhEEEvT_T0_DpT1_,comdat
	.globl	_ZN2at6native12_GLOBAL__N_125multi_tensor_apply_kernelINS1_18TensorListMetadataILi1EEENS1_27BinaryOpScalarTensorFunctorIhLi1ELi1ELi0EEEJSt10multipliesIhEPhhEEEvT_T0_DpT1_ ; -- Begin function _ZN2at6native12_GLOBAL__N_125multi_tensor_apply_kernelINS1_18TensorListMetadataILi1EEENS1_27BinaryOpScalarTensorFunctorIhLi1ELi1ELi0EEEJSt10multipliesIhEPhhEEEvT_T0_DpT1_
	.p2align	8
	.type	_ZN2at6native12_GLOBAL__N_125multi_tensor_apply_kernelINS1_18TensorListMetadataILi1EEENS1_27BinaryOpScalarTensorFunctorIhLi1ELi1ELi0EEEJSt10multipliesIhEPhhEEEvT_T0_DpT1_,@function
_ZN2at6native12_GLOBAL__N_125multi_tensor_apply_kernelINS1_18TensorListMetadataILi1EEENS1_27BinaryOpScalarTensorFunctorIhLi1ELi1ELi0EEEJSt10multipliesIhEPhhEEEvT_T0_DpT1_: ; @_ZN2at6native12_GLOBAL__N_125multi_tensor_apply_kernelINS1_18TensorListMetadataILi1EEENS1_27BinaryOpScalarTensorFunctorIhLi1ELi1ELi0EEEJSt10multipliesIhEPhhEEEvT_T0_DpT1_
; %bb.0:
	v_mov_b32_e32 v1, s6
	global_load_ubyte v1, v1, s[4:5] offset:1760
	s_add_u32 s0, s4, s6
	s_mul_hi_u32 s1, s6, 3
	s_mul_i32 s6, s6, 3
	s_addc_u32 s2, s5, 0
	s_add_u32 s0, s0, s6
	s_addc_u32 s1, s2, s1
	s_load_dword s2, s[0:1], 0x820
	s_load_dword s21, s[4:5], 0xd38
	s_waitcnt vmcnt(0)
	v_readfirstlane_b32 s0, v1
	s_lshl_b32 s3, s0, 3
	s_load_dwordx2 s[0:1], s[4:5], s3 offset:0x0
	s_load_dwordx2 s[10:11], s[4:5], 0xd30
	s_load_dwordx2 s[6:7], s[4:5], s3 offset:0x370
	s_waitcnt lgkmcnt(0)
	s_ashr_i32 s3, s2, 31
	s_lshl_b64 s[2:3], s[2:3], 16
	s_add_u32 s20, s0, s2
	s_addc_u32 s22, s1, s3
	s_sub_u32 s12, s6, s2
	s_subb_u32 s13, s7, s3
	s_or_b32 s6, s6, s20
	s_and_b32 s6, s6, 3
	s_cmp_eq_u32 s6, 0
	s_cbranch_scc1 .LBB24_21
; %bb.1:
	v_cmp_lt_i64_e64 s[6:7], s[12:13], 1
	s_and_b64 vcc, exec, s[6:7]
	s_cbranch_vccnz .LBB24_20
; %bb.2:
	s_load_dword s6, s[4:5], 0xd4c
	v_mov_b32_e32 v2, 0x10000
	v_mov_b32_e32 v3, 0
	v_cmp_lt_u64_e32 vcc, s[12:13], v[2:3]
	v_mov_b32_e32 v4, s3
	s_waitcnt lgkmcnt(0)
	s_and_b32 s8, s6, 0xffff
	s_and_b64 s[6:7], vcc, exec
	s_cselect_b32 s15, s13, 0
	s_cselect_b32 s14, s12, 0x10000
	s_lshl_b32 s9, s8, 1
	s_mul_i32 s6, s8, 3
	s_lshl_b32 s23, s8, 2
	s_and_b32 s24, s21, 0xff
	s_add_u32 s7, s2, s6
	v_add_co_u32_e32 v5, vcc, s2, v0
	s_addc_u32 s16, s3, 0
	v_addc_co_u32_e32 v4, vcc, 0, v4, vcc
	s_add_u32 s7, s0, s7
	v_mov_b32_e32 v7, s1
	v_add_co_u32_e32 v6, vcc, s0, v5
	s_addc_u32 s16, s1, s16
	v_addc_co_u32_e32 v7, vcc, v7, v4, vcc
	s_add_u32 s2, s2, s9
	v_mov_b32_e32 v9, s16
	v_add_co_u32_e32 v8, vcc, s7, v0
	s_addc_u32 s3, s3, 0
	v_addc_co_u32_e32 v9, vcc, 0, v9, vcc
	s_add_u32 s2, s0, s2
	v_add_co_u32_e32 v10, vcc, s6, v0
	s_addc_u32 s3, s1, s3
	v_addc_co_u32_e64 v11, s[6:7], 0, 0, vcc
	v_mov_b32_e32 v13, s3
	v_add_co_u32_e32 v12, vcc, s2, v0
	v_addc_co_u32_e32 v13, vcc, 0, v13, vcc
	s_add_u32 s0, s0, s8
	v_add_co_u32_e32 v14, vcc, s9, v0
	s_addc_u32 s1, s1, 0
	v_addc_co_u32_e64 v15, s[2:3], 0, 0, vcc
	v_mov_b32_e32 v17, s1
	v_add_co_u32_e32 v16, vcc, s0, v5
	v_addc_co_u32_e32 v17, vcc, v17, v4, vcc
	v_add_co_u32_e32 v18, vcc, s8, v0
	v_mov_b32_e32 v1, 0
	v_addc_co_u32_e64 v19, s[0:1], 0, 0, vcc
	s_mov_b64 s[16:17], 0
	v_pk_mov_b32 v[4:5], s[12:13], s[12:13] op_sel:[0,1]
	s_branch .LBB24_4
.LBB24_3:                               ;   in Loop: Header=BB24_4 Depth=1
	s_or_b64 exec, exec, s[0:1]
	s_add_u32 s16, s16, s23
	s_addc_u32 s17, s17, 0
	v_cmp_lt_i64_e32 vcc, s[16:17], v[4:5]
	v_cmp_lt_u64_e64 s[0:1], s[16:17], v[2:3]
	s_and_b64 s[0:1], vcc, s[0:1]
	s_and_b64 vcc, exec, s[0:1]
	s_cbranch_vccz .LBB24_20
.LBB24_4:                               ; =>This Inner Loop Header: Depth=1
	v_mov_b32_e32 v21, s17
	v_add_co_u32_e32 v20, vcc, s16, v0
	v_addc_co_u32_e32 v21, vcc, 0, v21, vcc
	v_cmp_gt_u64_e32 vcc, s[14:15], v[20:21]
	v_mov_b32_e32 v21, 0
	s_and_saveexec_b64 s[2:3], vcc
	s_cbranch_execz .LBB24_6
; %bb.5:                                ;   in Loop: Header=BB24_4 Depth=1
	v_mov_b32_e32 v21, s17
	v_add_co_u32_e64 v20, s[0:1], s16, v6
	v_addc_co_u32_e64 v21, s[0:1], v7, v21, s[0:1]
	global_load_ubyte v21, v[20:21], off
.LBB24_6:                               ;   in Loop: Header=BB24_4 Depth=1
	s_or_b64 exec, exec, s[2:3]
	v_mov_b32_e32 v20, s17
	v_add_co_u32_e64 v22, s[0:1], s16, v18
	v_addc_co_u32_e64 v23, s[0:1], v19, v20, s[0:1]
	v_cmp_gt_u64_e64 s[0:1], s[14:15], v[22:23]
	v_mov_b32_e32 v20, 0
	v_mov_b32_e32 v22, 0
	s_and_saveexec_b64 s[6:7], s[0:1]
	s_cbranch_execz .LBB24_8
; %bb.7:                                ;   in Loop: Header=BB24_4 Depth=1
	v_mov_b32_e32 v23, s17
	v_add_co_u32_e64 v22, s[2:3], s16, v16
	v_addc_co_u32_e64 v23, s[2:3], v17, v23, s[2:3]
	global_load_ubyte v22, v[22:23], off
.LBB24_8:                               ;   in Loop: Header=BB24_4 Depth=1
	s_or_b64 exec, exec, s[6:7]
	v_mov_b32_e32 v23, s17
	v_add_co_u32_e64 v24, s[2:3], s16, v14
	v_addc_co_u32_e64 v25, s[2:3], v15, v23, s[2:3]
	v_cmp_gt_u64_e64 s[2:3], s[14:15], v[24:25]
	s_and_saveexec_b64 s[8:9], s[2:3]
	s_cbranch_execz .LBB24_10
; %bb.9:                                ;   in Loop: Header=BB24_4 Depth=1
	v_mov_b32_e32 v20, s17
	v_add_co_u32_e64 v24, s[6:7], s16, v12
	v_addc_co_u32_e64 v25, s[6:7], v13, v20, s[6:7]
	global_load_ubyte v20, v[24:25], off
.LBB24_10:                              ;   in Loop: Header=BB24_4 Depth=1
	s_or_b64 exec, exec, s[8:9]
	v_mov_b32_e32 v23, s17
	v_add_co_u32_e64 v24, s[6:7], s16, v10
	v_addc_co_u32_e64 v25, s[6:7], v11, v23, s[6:7]
	v_cmp_gt_u64_e64 s[6:7], s[14:15], v[24:25]
	v_mov_b32_e32 v23, 0
	s_and_saveexec_b64 s[18:19], s[6:7]
	s_cbranch_execz .LBB24_12
; %bb.11:                               ;   in Loop: Header=BB24_4 Depth=1
	v_mov_b32_e32 v23, s17
	v_add_co_u32_e64 v24, s[8:9], s16, v8
	v_addc_co_u32_e64 v25, s[8:9], v9, v23, s[8:9]
	global_load_ubyte v23, v[24:25], off
.LBB24_12:                              ;   in Loop: Header=BB24_4 Depth=1
	s_or_b64 exec, exec, s[18:19]
	global_load_ubyte v24, v1, s[10:11]
	s_waitcnt vmcnt(0)
	v_mul_lo_u32 v24, v24, s24
	s_and_saveexec_b64 s[8:9], vcc
	s_cbranch_execnz .LBB24_16
; %bb.13:                               ;   in Loop: Header=BB24_4 Depth=1
	s_or_b64 exec, exec, s[8:9]
	s_and_saveexec_b64 s[8:9], s[0:1]
	s_cbranch_execnz .LBB24_17
.LBB24_14:                              ;   in Loop: Header=BB24_4 Depth=1
	s_or_b64 exec, exec, s[8:9]
	s_and_saveexec_b64 s[0:1], s[2:3]
	s_cbranch_execnz .LBB24_18
.LBB24_15:                              ;   in Loop: Header=BB24_4 Depth=1
	s_or_b64 exec, exec, s[0:1]
	s_and_saveexec_b64 s[0:1], s[6:7]
	s_cbranch_execz .LBB24_3
	s_branch .LBB24_19
.LBB24_16:                              ;   in Loop: Header=BB24_4 Depth=1
	v_mov_b32_e32 v25, s17
	v_add_co_u32_e32 v26, vcc, s16, v6
	v_addc_co_u32_e32 v27, vcc, v7, v25, vcc
	v_mul_lo_u16_e32 v21, v24, v21
	global_store_byte v[26:27], v21, off
	s_or_b64 exec, exec, s[8:9]
	s_and_saveexec_b64 s[8:9], s[0:1]
	s_cbranch_execz .LBB24_14
.LBB24_17:                              ;   in Loop: Header=BB24_4 Depth=1
	v_mul_lo_u16_e32 v21, v24, v22
	v_mov_b32_e32 v22, s17
	v_add_co_u32_e32 v26, vcc, s16, v16
	v_addc_co_u32_e32 v27, vcc, v17, v22, vcc
	global_store_byte v[26:27], v21, off
	s_or_b64 exec, exec, s[8:9]
	s_and_saveexec_b64 s[0:1], s[2:3]
	s_cbranch_execz .LBB24_15
.LBB24_18:                              ;   in Loop: Header=BB24_4 Depth=1
	v_mul_lo_u16_e32 v22, v24, v20
	v_mov_b32_e32 v21, s17
	v_add_co_u32_e32 v20, vcc, s16, v12
	v_addc_co_u32_e32 v21, vcc, v13, v21, vcc
	global_store_byte v[20:21], v22, off
	s_or_b64 exec, exec, s[0:1]
	s_and_saveexec_b64 s[0:1], s[6:7]
	s_cbranch_execz .LBB24_3
.LBB24_19:                              ;   in Loop: Header=BB24_4 Depth=1
	v_mov_b32_e32 v21, s17
	v_add_co_u32_e32 v20, vcc, s16, v8
	v_mul_lo_u16_e32 v22, v24, v23
	v_addc_co_u32_e32 v21, vcc, v9, v21, vcc
	global_store_byte v[20:21], v22, off
	s_branch .LBB24_3
.LBB24_20:
	s_cbranch_execz .LBB24_22
	s_branch .LBB24_25
.LBB24_21:
.LBB24_22:
	v_lshlrev_b32_e32 v0, 2, v0
	v_mov_b32_e32 v1, 0
	v_cmp_gt_i64_e32 vcc, s[12:13], v[0:1]
	s_and_saveexec_b64 s[0:1], vcc
	s_cbranch_execz .LBB24_25
; %bb.23:
	s_load_dword s0, s[4:5], 0xd4c
	s_mov_b32 s1, 0
	s_and_b32 s6, s21, 0xff
	s_mov_b64 s[2:3], 0
	v_mov_b32_e32 v4, s22
	s_waitcnt lgkmcnt(0)
	s_and_b32 s0, s0, 0xffff
	s_lshl_b32 s7, s0, 2
	v_mov_b32_e32 v5, s1
	s_mov_b64 s[4:5], 0xffff
	v_mov_b32_e32 v6, 8
	v_pk_mov_b32 v[2:3], v[0:1], v[0:1] op_sel:[0,1]
.LBB24_24:                              ; =>This Inner Loop Header: Depth=1
	v_add_co_u32_e32 v8, vcc, s20, v2
	v_addc_co_u32_e32 v9, vcc, v4, v3, vcc
	global_load_ubyte v0, v1, s[10:11]
	global_load_dword v7, v[8:9], off
	v_add_co_u32_e32 v2, vcc, s7, v2
	v_addc_co_u32_e32 v3, vcc, v5, v3, vcc
	v_cmp_le_i64_e32 vcc, s[12:13], v[2:3]
	v_cmp_lt_u64_e64 s[0:1], s[4:5], v[2:3]
	s_or_b64 s[0:1], vcc, s[0:1]
	s_and_b64 s[0:1], exec, s[0:1]
	s_or_b64 s[2:3], s[0:1], s[2:3]
	s_waitcnt vmcnt(1)
	v_mul_lo_u32 v0, v0, s6
	s_waitcnt vmcnt(0)
	v_lshrrev_b32_e32 v10, 8, v7
	v_mul_lo_u16_sdwa v12, v0, v7 dst_sel:DWORD dst_unused:UNUSED_PAD src0_sel:DWORD src1_sel:WORD_1
	v_mul_lo_u16_e32 v11, v0, v7
	v_mul_lo_u16_sdwa v7, v0, v7 dst_sel:DWORD dst_unused:UNUSED_PAD src0_sel:DWORD src1_sel:BYTE_3
	v_mul_lo_u16_e32 v0, v0, v10
	v_and_b32_e32 v10, 0xff, v12
	v_lshlrev_b32_e32 v10, 16, v10
	v_and_b32_e32 v11, 0xff, v11
	v_lshlrev_b32_sdwa v0, v6, v0 dst_sel:DWORD dst_unused:UNUSED_PAD src0_sel:DWORD src1_sel:BYTE_0
	v_lshl_or_b32 v7, v7, 24, v10
	v_or3_b32 v0, v7, v0, v11
	global_store_dword v[8:9], v0, off
	s_andn2_b64 exec, exec, s[2:3]
	s_cbranch_execnz .LBB24_24
.LBB24_25:
	s_endpgm
	.section	.rodata,"a",@progbits
	.p2align	6, 0x0
	.amdhsa_kernel _ZN2at6native12_GLOBAL__N_125multi_tensor_apply_kernelINS1_18TensorListMetadataILi1EEENS1_27BinaryOpScalarTensorFunctorIhLi1ELi1ELi0EEEJSt10multipliesIhEPhhEEEvT_T0_DpT1_
		.amdhsa_group_segment_fixed_size 0
		.amdhsa_private_segment_fixed_size 0
		.amdhsa_kernarg_size 3648
		.amdhsa_user_sgpr_count 6
		.amdhsa_user_sgpr_private_segment_buffer 1
		.amdhsa_user_sgpr_dispatch_ptr 0
		.amdhsa_user_sgpr_queue_ptr 0
		.amdhsa_user_sgpr_kernarg_segment_ptr 1
		.amdhsa_user_sgpr_dispatch_id 0
		.amdhsa_user_sgpr_flat_scratch_init 0
		.amdhsa_user_sgpr_kernarg_preload_length 0
		.amdhsa_user_sgpr_kernarg_preload_offset 0
		.amdhsa_user_sgpr_private_segment_size 0
		.amdhsa_uses_dynamic_stack 0
		.amdhsa_system_sgpr_private_segment_wavefront_offset 0
		.amdhsa_system_sgpr_workgroup_id_x 1
		.amdhsa_system_sgpr_workgroup_id_y 0
		.amdhsa_system_sgpr_workgroup_id_z 0
		.amdhsa_system_sgpr_workgroup_info 0
		.amdhsa_system_vgpr_workitem_id 0
		.amdhsa_next_free_vgpr 28
		.amdhsa_next_free_sgpr 25
		.amdhsa_accum_offset 28
		.amdhsa_reserve_vcc 1
		.amdhsa_reserve_flat_scratch 0
		.amdhsa_float_round_mode_32 0
		.amdhsa_float_round_mode_16_64 0
		.amdhsa_float_denorm_mode_32 3
		.amdhsa_float_denorm_mode_16_64 3
		.amdhsa_dx10_clamp 1
		.amdhsa_ieee_mode 1
		.amdhsa_fp16_overflow 0
		.amdhsa_tg_split 0
		.amdhsa_exception_fp_ieee_invalid_op 0
		.amdhsa_exception_fp_denorm_src 0
		.amdhsa_exception_fp_ieee_div_zero 0
		.amdhsa_exception_fp_ieee_overflow 0
		.amdhsa_exception_fp_ieee_underflow 0
		.amdhsa_exception_fp_ieee_inexact 0
		.amdhsa_exception_int_div_zero 0
	.end_amdhsa_kernel
	.section	.text._ZN2at6native12_GLOBAL__N_125multi_tensor_apply_kernelINS1_18TensorListMetadataILi1EEENS1_27BinaryOpScalarTensorFunctorIhLi1ELi1ELi0EEEJSt10multipliesIhEPhhEEEvT_T0_DpT1_,"axG",@progbits,_ZN2at6native12_GLOBAL__N_125multi_tensor_apply_kernelINS1_18TensorListMetadataILi1EEENS1_27BinaryOpScalarTensorFunctorIhLi1ELi1ELi0EEEJSt10multipliesIhEPhhEEEvT_T0_DpT1_,comdat
.Lfunc_end24:
	.size	_ZN2at6native12_GLOBAL__N_125multi_tensor_apply_kernelINS1_18TensorListMetadataILi1EEENS1_27BinaryOpScalarTensorFunctorIhLi1ELi1ELi0EEEJSt10multipliesIhEPhhEEEvT_T0_DpT1_, .Lfunc_end24-_ZN2at6native12_GLOBAL__N_125multi_tensor_apply_kernelINS1_18TensorListMetadataILi1EEENS1_27BinaryOpScalarTensorFunctorIhLi1ELi1ELi0EEEJSt10multipliesIhEPhhEEEvT_T0_DpT1_
                                        ; -- End function
	.section	.AMDGPU.csdata,"",@progbits
; Kernel info:
; codeLenInByte = 1152
; NumSgprs: 29
; NumVgprs: 28
; NumAgprs: 0
; TotalNumVgprs: 28
; ScratchSize: 0
; MemoryBound: 0
; FloatMode: 240
; IeeeMode: 1
; LDSByteSize: 0 bytes/workgroup (compile time only)
; SGPRBlocks: 3
; VGPRBlocks: 3
; NumSGPRsForWavesPerEU: 29
; NumVGPRsForWavesPerEU: 28
; AccumOffset: 28
; Occupancy: 8
; WaveLimiterHint : 0
; COMPUTE_PGM_RSRC2:SCRATCH_EN: 0
; COMPUTE_PGM_RSRC2:USER_SGPR: 6
; COMPUTE_PGM_RSRC2:TRAP_HANDLER: 0
; COMPUTE_PGM_RSRC2:TGID_X_EN: 1
; COMPUTE_PGM_RSRC2:TGID_Y_EN: 0
; COMPUTE_PGM_RSRC2:TGID_Z_EN: 0
; COMPUTE_PGM_RSRC2:TIDIG_COMP_CNT: 0
; COMPUTE_PGM_RSRC3_GFX90A:ACCUM_OFFSET: 6
; COMPUTE_PGM_RSRC3_GFX90A:TG_SPLIT: 0
	.section	.text._ZN2at6native12_GLOBAL__N_125multi_tensor_apply_kernelINS1_18TensorListMetadataILi1EEENS1_27BinaryOpScalarTensorFunctorIaLi1ELi1ELi0EEEJSt10multipliesIaEPaaEEEvT_T0_DpT1_,"axG",@progbits,_ZN2at6native12_GLOBAL__N_125multi_tensor_apply_kernelINS1_18TensorListMetadataILi1EEENS1_27BinaryOpScalarTensorFunctorIaLi1ELi1ELi0EEEJSt10multipliesIaEPaaEEEvT_T0_DpT1_,comdat
	.globl	_ZN2at6native12_GLOBAL__N_125multi_tensor_apply_kernelINS1_18TensorListMetadataILi1EEENS1_27BinaryOpScalarTensorFunctorIaLi1ELi1ELi0EEEJSt10multipliesIaEPaaEEEvT_T0_DpT1_ ; -- Begin function _ZN2at6native12_GLOBAL__N_125multi_tensor_apply_kernelINS1_18TensorListMetadataILi1EEENS1_27BinaryOpScalarTensorFunctorIaLi1ELi1ELi0EEEJSt10multipliesIaEPaaEEEvT_T0_DpT1_
	.p2align	8
	.type	_ZN2at6native12_GLOBAL__N_125multi_tensor_apply_kernelINS1_18TensorListMetadataILi1EEENS1_27BinaryOpScalarTensorFunctorIaLi1ELi1ELi0EEEJSt10multipliesIaEPaaEEEvT_T0_DpT1_,@function
_ZN2at6native12_GLOBAL__N_125multi_tensor_apply_kernelINS1_18TensorListMetadataILi1EEENS1_27BinaryOpScalarTensorFunctorIaLi1ELi1ELi0EEEJSt10multipliesIaEPaaEEEvT_T0_DpT1_: ; @_ZN2at6native12_GLOBAL__N_125multi_tensor_apply_kernelINS1_18TensorListMetadataILi1EEENS1_27BinaryOpScalarTensorFunctorIaLi1ELi1ELi0EEEJSt10multipliesIaEPaaEEEvT_T0_DpT1_
; %bb.0:
	v_mov_b32_e32 v1, s6
	global_load_ubyte v1, v1, s[4:5] offset:1760
	s_add_u32 s0, s4, s6
	s_mul_hi_u32 s1, s6, 3
	s_mul_i32 s6, s6, 3
	s_addc_u32 s2, s5, 0
	s_add_u32 s0, s0, s6
	s_addc_u32 s1, s2, s1
	s_load_dword s2, s[0:1], 0x820
	s_load_dword s21, s[4:5], 0xd38
	s_waitcnt vmcnt(0)
	v_readfirstlane_b32 s0, v1
	s_lshl_b32 s3, s0, 3
	s_load_dwordx2 s[0:1], s[4:5], s3 offset:0x0
	s_load_dwordx2 s[10:11], s[4:5], 0xd30
	s_load_dwordx2 s[6:7], s[4:5], s3 offset:0x370
	s_waitcnt lgkmcnt(0)
	s_ashr_i32 s3, s2, 31
	s_lshl_b64 s[2:3], s[2:3], 16
	s_add_u32 s20, s0, s2
	s_addc_u32 s22, s1, s3
	s_sub_u32 s12, s6, s2
	s_subb_u32 s13, s7, s3
	s_or_b32 s6, s6, s20
	s_and_b32 s6, s6, 3
	s_cmp_eq_u32 s6, 0
	s_cbranch_scc1 .LBB25_21
; %bb.1:
	v_cmp_lt_i64_e64 s[6:7], s[12:13], 1
	s_and_b64 vcc, exec, s[6:7]
	s_cbranch_vccnz .LBB25_20
; %bb.2:
	s_load_dword s6, s[4:5], 0xd4c
	v_mov_b32_e32 v2, 0x10000
	v_mov_b32_e32 v3, 0
	v_cmp_lt_u64_e32 vcc, s[12:13], v[2:3]
	v_mov_b32_e32 v4, s3
	s_waitcnt lgkmcnt(0)
	s_and_b32 s8, s6, 0xffff
	s_and_b64 s[6:7], vcc, exec
	s_cselect_b32 s15, s13, 0
	s_cselect_b32 s14, s12, 0x10000
	s_lshl_b32 s9, s8, 1
	s_mul_i32 s6, s8, 3
	s_lshl_b32 s23, s8, 2
	s_and_b32 s24, s21, 0xff
	s_add_u32 s7, s2, s6
	v_add_co_u32_e32 v5, vcc, s2, v0
	s_addc_u32 s16, s3, 0
	v_addc_co_u32_e32 v4, vcc, 0, v4, vcc
	s_add_u32 s7, s0, s7
	v_mov_b32_e32 v7, s1
	v_add_co_u32_e32 v6, vcc, s0, v5
	s_addc_u32 s16, s1, s16
	v_addc_co_u32_e32 v7, vcc, v7, v4, vcc
	s_add_u32 s2, s2, s9
	v_mov_b32_e32 v9, s16
	v_add_co_u32_e32 v8, vcc, s7, v0
	s_addc_u32 s3, s3, 0
	v_addc_co_u32_e32 v9, vcc, 0, v9, vcc
	s_add_u32 s2, s0, s2
	v_add_co_u32_e32 v10, vcc, s6, v0
	s_addc_u32 s3, s1, s3
	v_addc_co_u32_e64 v11, s[6:7], 0, 0, vcc
	v_mov_b32_e32 v13, s3
	v_add_co_u32_e32 v12, vcc, s2, v0
	v_addc_co_u32_e32 v13, vcc, 0, v13, vcc
	s_add_u32 s0, s0, s8
	v_add_co_u32_e32 v14, vcc, s9, v0
	s_addc_u32 s1, s1, 0
	v_addc_co_u32_e64 v15, s[2:3], 0, 0, vcc
	v_mov_b32_e32 v17, s1
	v_add_co_u32_e32 v16, vcc, s0, v5
	v_addc_co_u32_e32 v17, vcc, v17, v4, vcc
	v_add_co_u32_e32 v18, vcc, s8, v0
	v_mov_b32_e32 v1, 0
	v_addc_co_u32_e64 v19, s[0:1], 0, 0, vcc
	s_mov_b64 s[16:17], 0
	v_pk_mov_b32 v[4:5], s[12:13], s[12:13] op_sel:[0,1]
	s_branch .LBB25_4
.LBB25_3:                               ;   in Loop: Header=BB25_4 Depth=1
	s_or_b64 exec, exec, s[0:1]
	s_add_u32 s16, s16, s23
	s_addc_u32 s17, s17, 0
	v_cmp_lt_i64_e32 vcc, s[16:17], v[4:5]
	v_cmp_lt_u64_e64 s[0:1], s[16:17], v[2:3]
	s_and_b64 s[0:1], vcc, s[0:1]
	s_and_b64 vcc, exec, s[0:1]
	s_cbranch_vccz .LBB25_20
.LBB25_4:                               ; =>This Inner Loop Header: Depth=1
	v_mov_b32_e32 v21, s17
	v_add_co_u32_e32 v20, vcc, s16, v0
	v_addc_co_u32_e32 v21, vcc, 0, v21, vcc
	v_cmp_gt_u64_e32 vcc, s[14:15], v[20:21]
	v_mov_b32_e32 v21, 0
	s_and_saveexec_b64 s[2:3], vcc
	s_cbranch_execz .LBB25_6
; %bb.5:                                ;   in Loop: Header=BB25_4 Depth=1
	v_mov_b32_e32 v21, s17
	v_add_co_u32_e64 v20, s[0:1], s16, v6
	v_addc_co_u32_e64 v21, s[0:1], v7, v21, s[0:1]
	global_load_ubyte v21, v[20:21], off
.LBB25_6:                               ;   in Loop: Header=BB25_4 Depth=1
	s_or_b64 exec, exec, s[2:3]
	v_mov_b32_e32 v20, s17
	v_add_co_u32_e64 v22, s[0:1], s16, v18
	v_addc_co_u32_e64 v23, s[0:1], v19, v20, s[0:1]
	v_cmp_gt_u64_e64 s[0:1], s[14:15], v[22:23]
	v_mov_b32_e32 v20, 0
	v_mov_b32_e32 v22, 0
	s_and_saveexec_b64 s[6:7], s[0:1]
	s_cbranch_execz .LBB25_8
; %bb.7:                                ;   in Loop: Header=BB25_4 Depth=1
	v_mov_b32_e32 v23, s17
	v_add_co_u32_e64 v22, s[2:3], s16, v16
	v_addc_co_u32_e64 v23, s[2:3], v17, v23, s[2:3]
	global_load_ubyte v22, v[22:23], off
.LBB25_8:                               ;   in Loop: Header=BB25_4 Depth=1
	s_or_b64 exec, exec, s[6:7]
	v_mov_b32_e32 v23, s17
	v_add_co_u32_e64 v24, s[2:3], s16, v14
	v_addc_co_u32_e64 v25, s[2:3], v15, v23, s[2:3]
	v_cmp_gt_u64_e64 s[2:3], s[14:15], v[24:25]
	s_and_saveexec_b64 s[8:9], s[2:3]
	s_cbranch_execz .LBB25_10
; %bb.9:                                ;   in Loop: Header=BB25_4 Depth=1
	v_mov_b32_e32 v20, s17
	v_add_co_u32_e64 v24, s[6:7], s16, v12
	v_addc_co_u32_e64 v25, s[6:7], v13, v20, s[6:7]
	global_load_ubyte v20, v[24:25], off
.LBB25_10:                              ;   in Loop: Header=BB25_4 Depth=1
	s_or_b64 exec, exec, s[8:9]
	v_mov_b32_e32 v23, s17
	v_add_co_u32_e64 v24, s[6:7], s16, v10
	v_addc_co_u32_e64 v25, s[6:7], v11, v23, s[6:7]
	v_cmp_gt_u64_e64 s[6:7], s[14:15], v[24:25]
	v_mov_b32_e32 v23, 0
	s_and_saveexec_b64 s[18:19], s[6:7]
	s_cbranch_execz .LBB25_12
; %bb.11:                               ;   in Loop: Header=BB25_4 Depth=1
	v_mov_b32_e32 v23, s17
	v_add_co_u32_e64 v24, s[8:9], s16, v8
	v_addc_co_u32_e64 v25, s[8:9], v9, v23, s[8:9]
	global_load_ubyte v23, v[24:25], off
.LBB25_12:                              ;   in Loop: Header=BB25_4 Depth=1
	s_or_b64 exec, exec, s[18:19]
	global_load_ubyte v24, v1, s[10:11]
	s_waitcnt vmcnt(0)
	v_mul_lo_u32 v24, v24, s24
	s_and_saveexec_b64 s[8:9], vcc
	s_cbranch_execnz .LBB25_16
; %bb.13:                               ;   in Loop: Header=BB25_4 Depth=1
	s_or_b64 exec, exec, s[8:9]
	s_and_saveexec_b64 s[8:9], s[0:1]
	s_cbranch_execnz .LBB25_17
.LBB25_14:                              ;   in Loop: Header=BB25_4 Depth=1
	s_or_b64 exec, exec, s[8:9]
	s_and_saveexec_b64 s[0:1], s[2:3]
	s_cbranch_execnz .LBB25_18
.LBB25_15:                              ;   in Loop: Header=BB25_4 Depth=1
	s_or_b64 exec, exec, s[0:1]
	s_and_saveexec_b64 s[0:1], s[6:7]
	s_cbranch_execz .LBB25_3
	s_branch .LBB25_19
.LBB25_16:                              ;   in Loop: Header=BB25_4 Depth=1
	v_mov_b32_e32 v25, s17
	v_add_co_u32_e32 v26, vcc, s16, v6
	v_addc_co_u32_e32 v27, vcc, v7, v25, vcc
	v_mul_lo_u16_e32 v21, v24, v21
	global_store_byte v[26:27], v21, off
	s_or_b64 exec, exec, s[8:9]
	s_and_saveexec_b64 s[8:9], s[0:1]
	s_cbranch_execz .LBB25_14
.LBB25_17:                              ;   in Loop: Header=BB25_4 Depth=1
	v_mul_lo_u16_e32 v21, v24, v22
	v_mov_b32_e32 v22, s17
	v_add_co_u32_e32 v26, vcc, s16, v16
	v_addc_co_u32_e32 v27, vcc, v17, v22, vcc
	global_store_byte v[26:27], v21, off
	s_or_b64 exec, exec, s[8:9]
	s_and_saveexec_b64 s[0:1], s[2:3]
	s_cbranch_execz .LBB25_15
.LBB25_18:                              ;   in Loop: Header=BB25_4 Depth=1
	v_mul_lo_u16_e32 v22, v24, v20
	v_mov_b32_e32 v21, s17
	v_add_co_u32_e32 v20, vcc, s16, v12
	v_addc_co_u32_e32 v21, vcc, v13, v21, vcc
	global_store_byte v[20:21], v22, off
	s_or_b64 exec, exec, s[0:1]
	s_and_saveexec_b64 s[0:1], s[6:7]
	s_cbranch_execz .LBB25_3
.LBB25_19:                              ;   in Loop: Header=BB25_4 Depth=1
	v_mov_b32_e32 v21, s17
	v_add_co_u32_e32 v20, vcc, s16, v8
	v_mul_lo_u16_e32 v22, v24, v23
	v_addc_co_u32_e32 v21, vcc, v9, v21, vcc
	global_store_byte v[20:21], v22, off
	s_branch .LBB25_3
.LBB25_20:
	s_cbranch_execz .LBB25_22
	s_branch .LBB25_25
.LBB25_21:
.LBB25_22:
	v_lshlrev_b32_e32 v0, 2, v0
	v_mov_b32_e32 v1, 0
	v_cmp_gt_i64_e32 vcc, s[12:13], v[0:1]
	s_and_saveexec_b64 s[0:1], vcc
	s_cbranch_execz .LBB25_25
; %bb.23:
	s_load_dword s0, s[4:5], 0xd4c
	s_mov_b32 s1, 0
	s_and_b32 s6, s21, 0xff
	s_mov_b64 s[2:3], 0
	v_mov_b32_e32 v4, s22
	s_waitcnt lgkmcnt(0)
	s_and_b32 s0, s0, 0xffff
	s_lshl_b32 s7, s0, 2
	v_mov_b32_e32 v5, s1
	s_mov_b64 s[4:5], 0xffff
	v_mov_b32_e32 v6, 8
	v_pk_mov_b32 v[2:3], v[0:1], v[0:1] op_sel:[0,1]
.LBB25_24:                              ; =>This Inner Loop Header: Depth=1
	v_add_co_u32_e32 v8, vcc, s20, v2
	v_addc_co_u32_e32 v9, vcc, v4, v3, vcc
	global_load_ubyte v0, v1, s[10:11]
	global_load_dword v7, v[8:9], off
	v_add_co_u32_e32 v2, vcc, s7, v2
	v_addc_co_u32_e32 v3, vcc, v5, v3, vcc
	v_cmp_le_i64_e32 vcc, s[12:13], v[2:3]
	v_cmp_lt_u64_e64 s[0:1], s[4:5], v[2:3]
	s_or_b64 s[0:1], vcc, s[0:1]
	s_and_b64 s[0:1], exec, s[0:1]
	s_or_b64 s[2:3], s[0:1], s[2:3]
	s_waitcnt vmcnt(1)
	v_mul_lo_u32 v0, v0, s6
	s_waitcnt vmcnt(0)
	v_lshrrev_b32_e32 v10, 8, v7
	v_mul_lo_u16_sdwa v12, v0, v7 dst_sel:DWORD dst_unused:UNUSED_PAD src0_sel:DWORD src1_sel:WORD_1
	v_mul_lo_u16_e32 v11, v0, v7
	v_mul_lo_u16_sdwa v7, v0, v7 dst_sel:DWORD dst_unused:UNUSED_PAD src0_sel:DWORD src1_sel:BYTE_3
	v_mul_lo_u16_e32 v0, v0, v10
	v_and_b32_e32 v10, 0xff, v12
	v_lshlrev_b32_e32 v10, 16, v10
	v_and_b32_e32 v11, 0xff, v11
	v_lshlrev_b32_sdwa v0, v6, v0 dst_sel:DWORD dst_unused:UNUSED_PAD src0_sel:DWORD src1_sel:BYTE_0
	v_lshl_or_b32 v7, v7, 24, v10
	v_or3_b32 v0, v7, v0, v11
	global_store_dword v[8:9], v0, off
	s_andn2_b64 exec, exec, s[2:3]
	s_cbranch_execnz .LBB25_24
.LBB25_25:
	s_endpgm
	.section	.rodata,"a",@progbits
	.p2align	6, 0x0
	.amdhsa_kernel _ZN2at6native12_GLOBAL__N_125multi_tensor_apply_kernelINS1_18TensorListMetadataILi1EEENS1_27BinaryOpScalarTensorFunctorIaLi1ELi1ELi0EEEJSt10multipliesIaEPaaEEEvT_T0_DpT1_
		.amdhsa_group_segment_fixed_size 0
		.amdhsa_private_segment_fixed_size 0
		.amdhsa_kernarg_size 3648
		.amdhsa_user_sgpr_count 6
		.amdhsa_user_sgpr_private_segment_buffer 1
		.amdhsa_user_sgpr_dispatch_ptr 0
		.amdhsa_user_sgpr_queue_ptr 0
		.amdhsa_user_sgpr_kernarg_segment_ptr 1
		.amdhsa_user_sgpr_dispatch_id 0
		.amdhsa_user_sgpr_flat_scratch_init 0
		.amdhsa_user_sgpr_kernarg_preload_length 0
		.amdhsa_user_sgpr_kernarg_preload_offset 0
		.amdhsa_user_sgpr_private_segment_size 0
		.amdhsa_uses_dynamic_stack 0
		.amdhsa_system_sgpr_private_segment_wavefront_offset 0
		.amdhsa_system_sgpr_workgroup_id_x 1
		.amdhsa_system_sgpr_workgroup_id_y 0
		.amdhsa_system_sgpr_workgroup_id_z 0
		.amdhsa_system_sgpr_workgroup_info 0
		.amdhsa_system_vgpr_workitem_id 0
		.amdhsa_next_free_vgpr 28
		.amdhsa_next_free_sgpr 25
		.amdhsa_accum_offset 28
		.amdhsa_reserve_vcc 1
		.amdhsa_reserve_flat_scratch 0
		.amdhsa_float_round_mode_32 0
		.amdhsa_float_round_mode_16_64 0
		.amdhsa_float_denorm_mode_32 3
		.amdhsa_float_denorm_mode_16_64 3
		.amdhsa_dx10_clamp 1
		.amdhsa_ieee_mode 1
		.amdhsa_fp16_overflow 0
		.amdhsa_tg_split 0
		.amdhsa_exception_fp_ieee_invalid_op 0
		.amdhsa_exception_fp_denorm_src 0
		.amdhsa_exception_fp_ieee_div_zero 0
		.amdhsa_exception_fp_ieee_overflow 0
		.amdhsa_exception_fp_ieee_underflow 0
		.amdhsa_exception_fp_ieee_inexact 0
		.amdhsa_exception_int_div_zero 0
	.end_amdhsa_kernel
	.section	.text._ZN2at6native12_GLOBAL__N_125multi_tensor_apply_kernelINS1_18TensorListMetadataILi1EEENS1_27BinaryOpScalarTensorFunctorIaLi1ELi1ELi0EEEJSt10multipliesIaEPaaEEEvT_T0_DpT1_,"axG",@progbits,_ZN2at6native12_GLOBAL__N_125multi_tensor_apply_kernelINS1_18TensorListMetadataILi1EEENS1_27BinaryOpScalarTensorFunctorIaLi1ELi1ELi0EEEJSt10multipliesIaEPaaEEEvT_T0_DpT1_,comdat
.Lfunc_end25:
	.size	_ZN2at6native12_GLOBAL__N_125multi_tensor_apply_kernelINS1_18TensorListMetadataILi1EEENS1_27BinaryOpScalarTensorFunctorIaLi1ELi1ELi0EEEJSt10multipliesIaEPaaEEEvT_T0_DpT1_, .Lfunc_end25-_ZN2at6native12_GLOBAL__N_125multi_tensor_apply_kernelINS1_18TensorListMetadataILi1EEENS1_27BinaryOpScalarTensorFunctorIaLi1ELi1ELi0EEEJSt10multipliesIaEPaaEEEvT_T0_DpT1_
                                        ; -- End function
	.section	.AMDGPU.csdata,"",@progbits
; Kernel info:
; codeLenInByte = 1152
; NumSgprs: 29
; NumVgprs: 28
; NumAgprs: 0
; TotalNumVgprs: 28
; ScratchSize: 0
; MemoryBound: 0
; FloatMode: 240
; IeeeMode: 1
; LDSByteSize: 0 bytes/workgroup (compile time only)
; SGPRBlocks: 3
; VGPRBlocks: 3
; NumSGPRsForWavesPerEU: 29
; NumVGPRsForWavesPerEU: 28
; AccumOffset: 28
; Occupancy: 8
; WaveLimiterHint : 0
; COMPUTE_PGM_RSRC2:SCRATCH_EN: 0
; COMPUTE_PGM_RSRC2:USER_SGPR: 6
; COMPUTE_PGM_RSRC2:TRAP_HANDLER: 0
; COMPUTE_PGM_RSRC2:TGID_X_EN: 1
; COMPUTE_PGM_RSRC2:TGID_Y_EN: 0
; COMPUTE_PGM_RSRC2:TGID_Z_EN: 0
; COMPUTE_PGM_RSRC2:TIDIG_COMP_CNT: 0
; COMPUTE_PGM_RSRC3_GFX90A:ACCUM_OFFSET: 6
; COMPUTE_PGM_RSRC3_GFX90A:TG_SPLIT: 0
	.section	.text._ZN2at6native12_GLOBAL__N_125multi_tensor_apply_kernelINS1_18TensorListMetadataILi1EEENS1_27BinaryOpScalarTensorFunctorIiLi1ELi1ELi0EEEJSt10multipliesIiEPiiEEEvT_T0_DpT1_,"axG",@progbits,_ZN2at6native12_GLOBAL__N_125multi_tensor_apply_kernelINS1_18TensorListMetadataILi1EEENS1_27BinaryOpScalarTensorFunctorIiLi1ELi1ELi0EEEJSt10multipliesIiEPiiEEEvT_T0_DpT1_,comdat
	.globl	_ZN2at6native12_GLOBAL__N_125multi_tensor_apply_kernelINS1_18TensorListMetadataILi1EEENS1_27BinaryOpScalarTensorFunctorIiLi1ELi1ELi0EEEJSt10multipliesIiEPiiEEEvT_T0_DpT1_ ; -- Begin function _ZN2at6native12_GLOBAL__N_125multi_tensor_apply_kernelINS1_18TensorListMetadataILi1EEENS1_27BinaryOpScalarTensorFunctorIiLi1ELi1ELi0EEEJSt10multipliesIiEPiiEEEvT_T0_DpT1_
	.p2align	8
	.type	_ZN2at6native12_GLOBAL__N_125multi_tensor_apply_kernelINS1_18TensorListMetadataILi1EEENS1_27BinaryOpScalarTensorFunctorIiLi1ELi1ELi0EEEJSt10multipliesIiEPiiEEEvT_T0_DpT1_,@function
_ZN2at6native12_GLOBAL__N_125multi_tensor_apply_kernelINS1_18TensorListMetadataILi1EEENS1_27BinaryOpScalarTensorFunctorIiLi1ELi1ELi0EEEJSt10multipliesIiEPiiEEEvT_T0_DpT1_: ; @_ZN2at6native12_GLOBAL__N_125multi_tensor_apply_kernelINS1_18TensorListMetadataILi1EEENS1_27BinaryOpScalarTensorFunctorIiLi1ELi1ELi0EEEJSt10multipliesIiEPiiEEEvT_T0_DpT1_
; %bb.0:
	v_mov_b32_e32 v1, s6
	global_load_ubyte v1, v1, s[4:5] offset:1760
	s_add_u32 s0, s4, s6
	s_mul_hi_u32 s1, s6, 3
	s_mul_i32 s6, s6, 3
	s_addc_u32 s2, s5, 0
	s_add_u32 s0, s0, s6
	s_addc_u32 s1, s2, s1
	s_load_dword s0, s[0:1], 0x820
	s_mov_b32 s7, 0
	s_load_dword s24, s[4:5], 0xd38
	s_waitcnt vmcnt(0)
	v_readfirstlane_b32 s1, v1
	s_lshl_b32 s1, s1, 3
	s_load_dwordx2 s[10:11], s[4:5], 0xd30
	s_load_dwordx2 s[2:3], s[4:5], s1 offset:0x370
	s_load_dwordx2 s[14:15], s[4:5], s1 offset:0x0
	s_waitcnt lgkmcnt(0)
	s_ashr_i32 s1, s0, 31
	s_lshl_b64 s[16:17], s[0:1], 18
	s_lshl_b64 s[0:1], s[0:1], 16
	s_and_b32 s6, s14, 15
	s_sub_u32 s12, s2, s0
	s_subb_u32 s13, s3, s1
	s_and_b32 s0, s2, 3
	s_mov_b32 s1, s7
	s_or_b64 s[0:1], s[6:7], s[0:1]
	s_cmp_eq_u64 s[0:1], 0
	s_cbranch_scc1 .LBB26_21
; %bb.1:
	v_cmp_lt_i64_e64 s[0:1], s[12:13], 1
	s_and_b64 vcc, exec, s[0:1]
	s_cbranch_vccnz .LBB26_20
; %bb.2:
	s_load_dword s0, s[4:5], 0xd4c
	v_mov_b32_e32 v2, 0x10000
	v_mov_b32_e32 v3, 0
	v_cmp_lt_u64_e32 vcc, s[12:13], v[2:3]
	v_lshlrev_b32_e32 v4, 2, v0
	s_waitcnt lgkmcnt(0)
	s_and_b32 s3, s0, 0xffff
	s_and_b64 s[0:1], vcc, exec
	s_cselect_b32 s19, s13, 0
	s_cselect_b32 s18, s12, 0x10000
	s_lshl_b32 s6, s3, 1
	s_lshl_b32 s25, s3, 2
	s_add_u32 s7, s14, s16
	s_addc_u32 s8, s15, s17
	v_mov_b32_e32 v5, s8
	v_add_co_u32_e32 v4, vcc, s7, v4
	s_mul_i32 s0, s3, 3
	v_addc_co_u32_e32 v5, vcc, 0, v5, vcc
	v_add_co_u32_e32 v10, vcc, s0, v0
	v_addc_co_u32_e64 v11, s[0:1], 0, 0, vcc
	v_add_co_u32_e32 v12, vcc, s6, v0
	v_addc_co_u32_e64 v13, s[0:1], 0, 0, vcc
	v_add_co_u32_e32 v14, vcc, s3, v0
	v_lshlrev_b32_e32 v6, 2, v14
	s_mov_b32 s2, 0
	v_addc_co_u32_e64 v15, s[0:1], 0, 0, vcc
	v_mov_b32_e32 v7, s8
	v_add_co_u32_e32 v6, vcc, s7, v6
	v_mov_b32_e32 v1, 0
	s_lshl_b32 s26, s3, 4
	s_mul_i32 s27, s3, 12
	s_mov_b32 s28, s2
	s_lshl_b32 s29, s3, 3
	s_mov_b32 s30, s2
	v_addc_co_u32_e32 v7, vcc, 0, v7, vcc
	s_mov_b64 s[20:21], 0
	v_pk_mov_b32 v[8:9], s[12:13], s[12:13] op_sel:[0,1]
	v_mov_b32_e32 v16, s2
	s_branch .LBB26_4
.LBB26_3:                               ;   in Loop: Header=BB26_4 Depth=1
	s_or_b64 exec, exec, s[0:1]
	s_add_u32 s20, s20, s25
	s_addc_u32 s21, s21, 0
	v_cmp_lt_i64_e32 vcc, s[20:21], v[8:9]
	v_cmp_lt_u64_e64 s[0:1], s[20:21], v[2:3]
	s_and_b64 s[0:1], vcc, s[0:1]
	v_add_co_u32_e32 v4, vcc, s26, v4
	v_addc_co_u32_e32 v5, vcc, v5, v16, vcc
	v_add_co_u32_e32 v6, vcc, s26, v6
	v_addc_co_u32_e32 v7, vcc, v7, v16, vcc
	s_and_b64 vcc, exec, s[0:1]
	s_cbranch_vccz .LBB26_20
.LBB26_4:                               ; =>This Inner Loop Header: Depth=1
	v_mov_b32_e32 v17, s21
	v_add_co_u32_e32 v18, vcc, s20, v0
	v_addc_co_u32_e32 v19, vcc, 0, v17, vcc
	v_cmp_gt_u64_e32 vcc, s[18:19], v[18:19]
	v_mov_b32_e32 v17, 0
	s_and_saveexec_b64 s[0:1], vcc
	s_cbranch_execz .LBB26_6
; %bb.5:                                ;   in Loop: Header=BB26_4 Depth=1
	global_load_dword v17, v[4:5], off
.LBB26_6:                               ;   in Loop: Header=BB26_4 Depth=1
	s_or_b64 exec, exec, s[0:1]
	v_mov_b32_e32 v19, s21
	v_add_co_u32_e64 v18, s[0:1], s20, v14
	v_addc_co_u32_e64 v19, s[0:1], v15, v19, s[0:1]
	v_cmp_gt_u64_e64 s[0:1], s[18:19], v[18:19]
	v_mov_b32_e32 v18, 0
	v_mov_b32_e32 v19, 0
	s_and_saveexec_b64 s[2:3], s[0:1]
	s_cbranch_execz .LBB26_8
; %bb.7:                                ;   in Loop: Header=BB26_4 Depth=1
	global_load_dword v19, v[6:7], off
.LBB26_8:                               ;   in Loop: Header=BB26_4 Depth=1
	s_or_b64 exec, exec, s[2:3]
	v_mov_b32_e32 v21, s21
	v_add_co_u32_e64 v20, s[2:3], s20, v12
	v_addc_co_u32_e64 v21, s[2:3], v13, v21, s[2:3]
	v_cmp_gt_u64_e64 s[2:3], s[18:19], v[20:21]
	s_and_saveexec_b64 s[8:9], s[2:3]
	s_cbranch_execz .LBB26_10
; %bb.9:                                ;   in Loop: Header=BB26_4 Depth=1
	v_mov_b32_e32 v18, s30
	v_add_co_u32_e64 v20, s[6:7], s29, v4
	v_addc_co_u32_e64 v21, s[6:7], v5, v18, s[6:7]
	global_load_dword v18, v[20:21], off
.LBB26_10:                              ;   in Loop: Header=BB26_4 Depth=1
	s_or_b64 exec, exec, s[8:9]
	v_mov_b32_e32 v21, s21
	v_add_co_u32_e64 v20, s[6:7], s20, v10
	v_addc_co_u32_e64 v21, s[6:7], v11, v21, s[6:7]
	v_cmp_gt_u64_e64 s[6:7], s[18:19], v[20:21]
	v_mov_b32_e32 v20, 0
	s_and_saveexec_b64 s[22:23], s[6:7]
	s_cbranch_execz .LBB26_12
; %bb.11:                               ;   in Loop: Header=BB26_4 Depth=1
	v_mov_b32_e32 v21, s28
	v_add_co_u32_e64 v20, s[8:9], s27, v4
	v_addc_co_u32_e64 v21, s[8:9], v5, v21, s[8:9]
	global_load_dword v20, v[20:21], off
.LBB26_12:                              ;   in Loop: Header=BB26_4 Depth=1
	s_or_b64 exec, exec, s[22:23]
	global_load_dword v21, v1, s[10:11]
	s_waitcnt vmcnt(0)
	v_mul_lo_u32 v21, v21, s24
	s_and_saveexec_b64 s[8:9], vcc
	s_cbranch_execnz .LBB26_16
; %bb.13:                               ;   in Loop: Header=BB26_4 Depth=1
	s_or_b64 exec, exec, s[8:9]
	s_and_saveexec_b64 s[8:9], s[0:1]
	s_cbranch_execnz .LBB26_17
.LBB26_14:                              ;   in Loop: Header=BB26_4 Depth=1
	s_or_b64 exec, exec, s[8:9]
	s_and_saveexec_b64 s[0:1], s[2:3]
	s_cbranch_execnz .LBB26_18
.LBB26_15:                              ;   in Loop: Header=BB26_4 Depth=1
	s_or_b64 exec, exec, s[0:1]
	s_and_saveexec_b64 s[0:1], s[6:7]
	s_cbranch_execz .LBB26_3
	s_branch .LBB26_19
.LBB26_16:                              ;   in Loop: Header=BB26_4 Depth=1
	v_mul_lo_u32 v17, v21, v17
	global_store_dword v[4:5], v17, off
	s_or_b64 exec, exec, s[8:9]
	s_and_saveexec_b64 s[8:9], s[0:1]
	s_cbranch_execz .LBB26_14
.LBB26_17:                              ;   in Loop: Header=BB26_4 Depth=1
	v_mul_lo_u32 v17, v21, v19
	global_store_dword v[6:7], v17, off
	s_or_b64 exec, exec, s[8:9]
	s_and_saveexec_b64 s[0:1], s[2:3]
	s_cbranch_execz .LBB26_15
.LBB26_18:                              ;   in Loop: Header=BB26_4 Depth=1
	v_mul_lo_u32 v17, v21, v18
	v_mov_b32_e32 v19, s30
	v_add_co_u32_e32 v18, vcc, s29, v4
	v_addc_co_u32_e32 v19, vcc, v5, v19, vcc
	global_store_dword v[18:19], v17, off
	s_or_b64 exec, exec, s[0:1]
	s_and_saveexec_b64 s[0:1], s[6:7]
	s_cbranch_execz .LBB26_3
.LBB26_19:                              ;   in Loop: Header=BB26_4 Depth=1
	v_mov_b32_e32 v19, s28
	v_add_co_u32_e32 v18, vcc, s27, v4
	v_mul_lo_u32 v17, v21, v20
	v_addc_co_u32_e32 v19, vcc, v5, v19, vcc
	global_store_dword v[18:19], v17, off
	s_branch .LBB26_3
.LBB26_20:
	s_cbranch_execz .LBB26_22
	s_branch .LBB26_25
.LBB26_21:
.LBB26_22:
	v_mov_b32_e32 v3, 0
	v_lshlrev_b32_e32 v2, 2, v0
	s_mov_b32 s0, 0
	v_cmp_gt_i64_e32 vcc, s[12:13], v[2:3]
	s_and_saveexec_b64 s[2:3], vcc
	s_cbranch_execz .LBB26_25
; %bb.23:
	s_load_dword s1, s[4:5], 0xd4c
	v_lshlrev_b32_e32 v1, 4, v0
	s_mov_b64 s[4:5], 0xffff
	v_mov_b32_e32 v6, s0
	v_mov_b32_e32 v7, s0
	s_waitcnt lgkmcnt(0)
	s_and_b32 s1, s1, 0xffff
	s_add_u32 s2, s14, s16
	s_addc_u32 s3, s15, s17
	v_mov_b32_e32 v2, s3
	v_add_co_u32_e32 v1, vcc, s2, v1
	v_addc_co_u32_e32 v2, vcc, 0, v2, vcc
	v_add_co_u32_e32 v4, vcc, 8, v1
	v_addc_co_u32_e32 v5, vcc, 0, v2, vcc
	v_add_lshl_u32 v2, v0, s1, 2
	s_lshl_b32 s6, s1, 4
	s_lshl_b32 s7, s1, 2
	s_mov_b64 s[2:3], 0
	v_pk_mov_b32 v[0:1], v[2:3], v[2:3] op_sel:[0,1]
.LBB26_24:                              ; =>This Inner Loop Header: Depth=1
	global_load_dword v2, v3, s[10:11]
	global_load_dwordx4 v[8:11], v[4:5], off offset:-8
	v_cmp_le_i64_e32 vcc, s[12:13], v[0:1]
	v_cmp_lt_u64_e64 s[0:1], s[4:5], v[0:1]
	s_or_b64 s[0:1], vcc, s[0:1]
	s_and_b64 s[0:1], exec, s[0:1]
	s_or_b64 s[2:3], s[0:1], s[2:3]
	s_waitcnt vmcnt(1)
	v_mul_lo_u32 v2, v2, s24
	s_waitcnt vmcnt(0)
	v_mul_lo_u32 v9, v2, v9
	v_mul_lo_u32 v8, v2, v8
	;; [unrolled: 1-line block ×4, first 2 shown]
	global_store_dwordx4 v[4:5], v[8:11], off offset:-8
	v_add_co_u32_e32 v4, vcc, s6, v4
	v_addc_co_u32_e32 v5, vcc, v5, v6, vcc
	v_add_co_u32_e32 v0, vcc, s7, v0
	v_addc_co_u32_e32 v1, vcc, v1, v7, vcc
	s_andn2_b64 exec, exec, s[2:3]
	s_cbranch_execnz .LBB26_24
.LBB26_25:
	s_endpgm
	.section	.rodata,"a",@progbits
	.p2align	6, 0x0
	.amdhsa_kernel _ZN2at6native12_GLOBAL__N_125multi_tensor_apply_kernelINS1_18TensorListMetadataILi1EEENS1_27BinaryOpScalarTensorFunctorIiLi1ELi1ELi0EEEJSt10multipliesIiEPiiEEEvT_T0_DpT1_
		.amdhsa_group_segment_fixed_size 0
		.amdhsa_private_segment_fixed_size 0
		.amdhsa_kernarg_size 3648
		.amdhsa_user_sgpr_count 6
		.amdhsa_user_sgpr_private_segment_buffer 1
		.amdhsa_user_sgpr_dispatch_ptr 0
		.amdhsa_user_sgpr_queue_ptr 0
		.amdhsa_user_sgpr_kernarg_segment_ptr 1
		.amdhsa_user_sgpr_dispatch_id 0
		.amdhsa_user_sgpr_flat_scratch_init 0
		.amdhsa_user_sgpr_kernarg_preload_length 0
		.amdhsa_user_sgpr_kernarg_preload_offset 0
		.amdhsa_user_sgpr_private_segment_size 0
		.amdhsa_uses_dynamic_stack 0
		.amdhsa_system_sgpr_private_segment_wavefront_offset 0
		.amdhsa_system_sgpr_workgroup_id_x 1
		.amdhsa_system_sgpr_workgroup_id_y 0
		.amdhsa_system_sgpr_workgroup_id_z 0
		.amdhsa_system_sgpr_workgroup_info 0
		.amdhsa_system_vgpr_workitem_id 0
		.amdhsa_next_free_vgpr 22
		.amdhsa_next_free_sgpr 31
		.amdhsa_accum_offset 24
		.amdhsa_reserve_vcc 1
		.amdhsa_reserve_flat_scratch 0
		.amdhsa_float_round_mode_32 0
		.amdhsa_float_round_mode_16_64 0
		.amdhsa_float_denorm_mode_32 3
		.amdhsa_float_denorm_mode_16_64 3
		.amdhsa_dx10_clamp 1
		.amdhsa_ieee_mode 1
		.amdhsa_fp16_overflow 0
		.amdhsa_tg_split 0
		.amdhsa_exception_fp_ieee_invalid_op 0
		.amdhsa_exception_fp_denorm_src 0
		.amdhsa_exception_fp_ieee_div_zero 0
		.amdhsa_exception_fp_ieee_overflow 0
		.amdhsa_exception_fp_ieee_underflow 0
		.amdhsa_exception_fp_ieee_inexact 0
		.amdhsa_exception_int_div_zero 0
	.end_amdhsa_kernel
	.section	.text._ZN2at6native12_GLOBAL__N_125multi_tensor_apply_kernelINS1_18TensorListMetadataILi1EEENS1_27BinaryOpScalarTensorFunctorIiLi1ELi1ELi0EEEJSt10multipliesIiEPiiEEEvT_T0_DpT1_,"axG",@progbits,_ZN2at6native12_GLOBAL__N_125multi_tensor_apply_kernelINS1_18TensorListMetadataILi1EEENS1_27BinaryOpScalarTensorFunctorIiLi1ELi1ELi0EEEJSt10multipliesIiEPiiEEEvT_T0_DpT1_,comdat
.Lfunc_end26:
	.size	_ZN2at6native12_GLOBAL__N_125multi_tensor_apply_kernelINS1_18TensorListMetadataILi1EEENS1_27BinaryOpScalarTensorFunctorIiLi1ELi1ELi0EEEJSt10multipliesIiEPiiEEEvT_T0_DpT1_, .Lfunc_end26-_ZN2at6native12_GLOBAL__N_125multi_tensor_apply_kernelINS1_18TensorListMetadataILi1EEENS1_27BinaryOpScalarTensorFunctorIiLi1ELi1ELi0EEEJSt10multipliesIiEPiiEEEvT_T0_DpT1_
                                        ; -- End function
	.section	.AMDGPU.csdata,"",@progbits
; Kernel info:
; codeLenInByte = 1080
; NumSgprs: 35
; NumVgprs: 22
; NumAgprs: 0
; TotalNumVgprs: 22
; ScratchSize: 0
; MemoryBound: 0
; FloatMode: 240
; IeeeMode: 1
; LDSByteSize: 0 bytes/workgroup (compile time only)
; SGPRBlocks: 4
; VGPRBlocks: 2
; NumSGPRsForWavesPerEU: 35
; NumVGPRsForWavesPerEU: 22
; AccumOffset: 24
; Occupancy: 8
; WaveLimiterHint : 0
; COMPUTE_PGM_RSRC2:SCRATCH_EN: 0
; COMPUTE_PGM_RSRC2:USER_SGPR: 6
; COMPUTE_PGM_RSRC2:TRAP_HANDLER: 0
; COMPUTE_PGM_RSRC2:TGID_X_EN: 1
; COMPUTE_PGM_RSRC2:TGID_Y_EN: 0
; COMPUTE_PGM_RSRC2:TGID_Z_EN: 0
; COMPUTE_PGM_RSRC2:TIDIG_COMP_CNT: 0
; COMPUTE_PGM_RSRC3_GFX90A:ACCUM_OFFSET: 5
; COMPUTE_PGM_RSRC3_GFX90A:TG_SPLIT: 0
	.section	.text._ZN2at6native12_GLOBAL__N_125multi_tensor_apply_kernelINS1_18TensorListMetadataILi1EEENS1_27BinaryOpScalarTensorFunctorIlLi1ELi1ELi0EEEJSt10multipliesIlEPllEEEvT_T0_DpT1_,"axG",@progbits,_ZN2at6native12_GLOBAL__N_125multi_tensor_apply_kernelINS1_18TensorListMetadataILi1EEENS1_27BinaryOpScalarTensorFunctorIlLi1ELi1ELi0EEEJSt10multipliesIlEPllEEEvT_T0_DpT1_,comdat
	.globl	_ZN2at6native12_GLOBAL__N_125multi_tensor_apply_kernelINS1_18TensorListMetadataILi1EEENS1_27BinaryOpScalarTensorFunctorIlLi1ELi1ELi0EEEJSt10multipliesIlEPllEEEvT_T0_DpT1_ ; -- Begin function _ZN2at6native12_GLOBAL__N_125multi_tensor_apply_kernelINS1_18TensorListMetadataILi1EEENS1_27BinaryOpScalarTensorFunctorIlLi1ELi1ELi0EEEJSt10multipliesIlEPllEEEvT_T0_DpT1_
	.p2align	8
	.type	_ZN2at6native12_GLOBAL__N_125multi_tensor_apply_kernelINS1_18TensorListMetadataILi1EEENS1_27BinaryOpScalarTensorFunctorIlLi1ELi1ELi0EEEJSt10multipliesIlEPllEEEvT_T0_DpT1_,@function
_ZN2at6native12_GLOBAL__N_125multi_tensor_apply_kernelINS1_18TensorListMetadataILi1EEENS1_27BinaryOpScalarTensorFunctorIlLi1ELi1ELi0EEEJSt10multipliesIlEPllEEEvT_T0_DpT1_: ; @_ZN2at6native12_GLOBAL__N_125multi_tensor_apply_kernelINS1_18TensorListMetadataILi1EEENS1_27BinaryOpScalarTensorFunctorIlLi1ELi1ELi0EEEJSt10multipliesIlEPllEEEvT_T0_DpT1_
; %bb.0:
	v_mov_b32_e32 v1, s6
	global_load_ubyte v1, v1, s[4:5] offset:1760
	s_add_u32 s0, s4, s6
	s_mul_hi_u32 s1, s6, 3
	s_mul_i32 s6, s6, 3
	s_addc_u32 s2, s5, 0
	s_add_u32 s0, s0, s6
	s_addc_u32 s1, s2, s1
	s_load_dword s0, s[0:1], 0x820
	s_mov_b32 s7, 0
	s_load_dwordx4 s[12:15], s[4:5], 0xd30
	s_waitcnt vmcnt(0)
	v_readfirstlane_b32 s1, v1
	s_lshl_b32 s1, s1, 3
	s_load_dwordx2 s[2:3], s[4:5], s1 offset:0x370
	s_load_dwordx2 s[16:17], s[4:5], s1 offset:0x0
	s_waitcnt lgkmcnt(0)
	s_ashr_i32 s1, s0, 31
	s_lshl_b64 s[18:19], s[0:1], 19
	s_lshl_b64 s[0:1], s[0:1], 16
	s_and_b32 s6, s16, 31
	s_sub_u32 s10, s2, s0
	s_subb_u32 s11, s3, s1
	s_and_b32 s0, s2, 3
	s_mov_b32 s1, s7
	s_or_b64 s[0:1], s[6:7], s[0:1]
	s_cmp_eq_u64 s[0:1], 0
	s_cbranch_scc1 .LBB27_21
; %bb.1:
	v_cmp_lt_i64_e64 s[0:1], s[10:11], 1
	s_and_b64 vcc, exec, s[0:1]
	s_cbranch_vccnz .LBB27_20
; %bb.2:
	s_load_dword s0, s[4:5], 0xd4c
	v_mov_b32_e32 v2, 0x10000
	v_mov_b32_e32 v3, 0
	v_cmp_lt_u64_e32 vcc, s[10:11], v[2:3]
	v_lshlrev_b32_e32 v2, 3, v0
	s_waitcnt lgkmcnt(0)
	s_and_b32 s3, s0, 0xffff
	s_and_b64 s[0:1], vcc, exec
	s_cselect_b32 s21, s11, 0
	s_cselect_b32 s20, s10, 0x10000
	s_lshl_b32 s6, s3, 1
	s_lshl_b32 s26, s3, 2
	s_add_u32 s7, s16, s18
	s_addc_u32 s8, s17, s19
	v_mov_b32_e32 v3, s8
	v_add_co_u32_e32 v2, vcc, s7, v2
	s_mul_i32 s0, s3, 3
	v_addc_co_u32_e32 v3, vcc, 0, v3, vcc
	v_add_co_u32_e32 v16, vcc, s0, v0
	v_addc_co_u32_e64 v17, s[0:1], 0, 0, vcc
	v_add_co_u32_e32 v18, vcc, s6, v0
	v_addc_co_u32_e64 v19, s[0:1], 0, 0, vcc
	v_add_co_u32_e32 v20, vcc, s3, v0
	v_lshlrev_b32_e32 v4, 3, v20
	s_mov_b32 s2, 0
	v_addc_co_u32_e64 v21, s[0:1], 0, 0, vcc
	v_mov_b32_e32 v5, s8
	v_add_co_u32_e32 v4, vcc, s7, v4
	v_mov_b32_e32 v1, 0
	s_lshl_b32 s27, s3, 5
	s_mul_i32 s28, s3, 24
	s_mov_b32 s29, s2
	s_lshl_b32 s30, s3, 4
	s_mov_b32 s31, s2
	v_addc_co_u32_e32 v5, vcc, 0, v5, vcc
	s_mov_b64 s[22:23], 0
	v_pk_mov_b32 v[6:7], s[10:11], s[10:11] op_sel:[0,1]
	v_mov_b32_e32 v22, s2
	s_branch .LBB27_4
.LBB27_3:                               ;   in Loop: Header=BB27_4 Depth=1
	s_or_b64 exec, exec, s[0:1]
	s_add_u32 s22, s22, s26
	v_mov_b32_e32 v8, 0x10000
	s_addc_u32 s23, s23, 0
	v_mov_b32_e32 v9, 0
	v_cmp_lt_i64_e32 vcc, s[22:23], v[6:7]
	v_cmp_lt_u64_e64 s[0:1], s[22:23], v[8:9]
	s_and_b64 s[0:1], vcc, s[0:1]
	v_add_co_u32_e32 v2, vcc, s27, v2
	v_addc_co_u32_e32 v3, vcc, v3, v22, vcc
	v_add_co_u32_e32 v4, vcc, s27, v4
	v_addc_co_u32_e32 v5, vcc, v5, v22, vcc
	s_and_b64 vcc, exec, s[0:1]
	s_cbranch_vccz .LBB27_20
.LBB27_4:                               ; =>This Inner Loop Header: Depth=1
	v_mov_b32_e32 v9, s23
	v_add_co_u32_e32 v8, vcc, s22, v0
	v_addc_co_u32_e32 v9, vcc, 0, v9, vcc
	v_cmp_gt_u64_e32 vcc, s[20:21], v[8:9]
	v_pk_mov_b32 v[8:9], 0, 0
	v_pk_mov_b32 v[12:13], v[8:9], v[8:9] op_sel:[0,1]
	s_and_saveexec_b64 s[0:1], vcc
	s_cbranch_execz .LBB27_6
; %bb.5:                                ;   in Loop: Header=BB27_4 Depth=1
	global_load_dwordx2 v[12:13], v[2:3], off
.LBB27_6:                               ;   in Loop: Header=BB27_4 Depth=1
	s_or_b64 exec, exec, s[0:1]
	v_mov_b32_e32 v11, s23
	v_add_co_u32_e64 v10, s[0:1], s22, v20
	v_addc_co_u32_e64 v11, s[0:1], v21, v11, s[0:1]
	v_cmp_gt_u64_e64 s[0:1], s[20:21], v[10:11]
	s_and_saveexec_b64 s[2:3], s[0:1]
	s_cbranch_execz .LBB27_8
; %bb.7:                                ;   in Loop: Header=BB27_4 Depth=1
	global_load_dwordx2 v[8:9], v[4:5], off
.LBB27_8:                               ;   in Loop: Header=BB27_4 Depth=1
	s_or_b64 exec, exec, s[2:3]
	v_mov_b32_e32 v11, s23
	v_add_co_u32_e64 v10, s[2:3], s22, v18
	v_addc_co_u32_e64 v11, s[2:3], v19, v11, s[2:3]
	v_cmp_gt_u64_e64 s[2:3], s[20:21], v[10:11]
	v_pk_mov_b32 v[10:11], 0, 0
	v_pk_mov_b32 v[14:15], v[10:11], v[10:11] op_sel:[0,1]
	s_and_saveexec_b64 s[8:9], s[2:3]
	s_cbranch_execz .LBB27_10
; %bb.9:                                ;   in Loop: Header=BB27_4 Depth=1
	v_mov_b32_e32 v15, s31
	v_add_co_u32_e64 v14, s[6:7], s30, v2
	v_addc_co_u32_e64 v15, s[6:7], v3, v15, s[6:7]
	global_load_dwordx2 v[14:15], v[14:15], off
.LBB27_10:                              ;   in Loop: Header=BB27_4 Depth=1
	s_or_b64 exec, exec, s[8:9]
	v_mov_b32_e32 v23, s23
	v_add_co_u32_e64 v24, s[6:7], s22, v16
	v_addc_co_u32_e64 v25, s[6:7], v17, v23, s[6:7]
	v_cmp_gt_u64_e64 s[6:7], s[20:21], v[24:25]
	s_and_saveexec_b64 s[24:25], s[6:7]
	s_cbranch_execz .LBB27_12
; %bb.11:                               ;   in Loop: Header=BB27_4 Depth=1
	v_mov_b32_e32 v11, s29
	v_add_co_u32_e64 v10, s[8:9], s28, v2
	v_addc_co_u32_e64 v11, s[8:9], v3, v11, s[8:9]
	global_load_dwordx2 v[10:11], v[10:11], off
.LBB27_12:                              ;   in Loop: Header=BB27_4 Depth=1
	s_or_b64 exec, exec, s[24:25]
	global_load_dwordx2 v[24:25], v1, s[12:13]
	s_waitcnt vmcnt(0)
	v_readfirstlane_b32 s24, v24
	s_mul_i32 s8, s24, s15
	s_mul_hi_u32 s9, s24, s14
	v_mul_lo_u32 v23, v25, s14
	s_add_i32 s9, s9, s8
	v_add_u32_e32 v23, s9, v23
	s_mul_i32 s24, s24, s14
	s_and_saveexec_b64 s[8:9], vcc
	s_cbranch_execnz .LBB27_16
; %bb.13:                               ;   in Loop: Header=BB27_4 Depth=1
	s_or_b64 exec, exec, s[8:9]
	s_and_saveexec_b64 s[8:9], s[0:1]
	s_cbranch_execnz .LBB27_17
.LBB27_14:                              ;   in Loop: Header=BB27_4 Depth=1
	s_or_b64 exec, exec, s[8:9]
	s_and_saveexec_b64 s[0:1], s[2:3]
	s_cbranch_execnz .LBB27_18
.LBB27_15:                              ;   in Loop: Header=BB27_4 Depth=1
	s_or_b64 exec, exec, s[0:1]
	s_and_saveexec_b64 s[0:1], s[6:7]
	s_cbranch_execz .LBB27_3
	s_branch .LBB27_19
.LBB27_16:                              ;   in Loop: Header=BB27_4 Depth=1
	v_mul_lo_u32 v24, v23, v12
	v_mul_lo_u32 v25, s24, v13
	v_mad_u64_u32 v[12:13], s[34:35], s24, v12, 0
	v_add3_u32 v13, v13, v25, v24
	global_store_dwordx2 v[2:3], v[12:13], off
	s_or_b64 exec, exec, s[8:9]
	s_and_saveexec_b64 s[8:9], s[0:1]
	s_cbranch_execz .LBB27_14
.LBB27_17:                              ;   in Loop: Header=BB27_4 Depth=1
	v_mul_lo_u32 v12, v23, v8
	v_mul_lo_u32 v13, s24, v9
	v_mad_u64_u32 v[8:9], s[0:1], s24, v8, 0
	v_add3_u32 v9, v9, v13, v12
	global_store_dwordx2 v[4:5], v[8:9], off
	s_or_b64 exec, exec, s[8:9]
	s_and_saveexec_b64 s[0:1], s[2:3]
	s_cbranch_execz .LBB27_15
.LBB27_18:                              ;   in Loop: Header=BB27_4 Depth=1
	v_mul_lo_u32 v12, v23, v14
	v_mul_lo_u32 v13, s24, v15
	v_mad_u64_u32 v[8:9], s[2:3], s24, v14, 0
	v_add3_u32 v9, v9, v13, v12
	v_mov_b32_e32 v13, s31
	v_add_co_u32_e32 v12, vcc, s30, v2
	v_addc_co_u32_e32 v13, vcc, v3, v13, vcc
	global_store_dwordx2 v[12:13], v[8:9], off
	s_or_b64 exec, exec, s[0:1]
	s_and_saveexec_b64 s[0:1], s[6:7]
	s_cbranch_execz .LBB27_3
.LBB27_19:                              ;   in Loop: Header=BB27_4 Depth=1
	v_mul_lo_u32 v12, v23, v10
	v_mul_lo_u32 v11, s24, v11
	v_mad_u64_u32 v[8:9], s[2:3], s24, v10, 0
	v_add3_u32 v9, v9, v11, v12
	v_mov_b32_e32 v11, s29
	v_add_co_u32_e32 v10, vcc, s28, v2
	v_addc_co_u32_e32 v11, vcc, v3, v11, vcc
	global_store_dwordx2 v[10:11], v[8:9], off
	s_branch .LBB27_3
.LBB27_20:
	s_cbranch_execz .LBB27_22
	s_branch .LBB27_25
.LBB27_21:
.LBB27_22:
	v_mov_b32_e32 v3, 0
	v_lshlrev_b32_e32 v2, 2, v0
	s_mov_b32 s0, 0
	v_cmp_gt_i64_e32 vcc, s[10:11], v[2:3]
	s_and_saveexec_b64 s[2:3], vcc
	s_cbranch_execz .LBB27_25
; %bb.23:
	s_load_dword s1, s[4:5], 0xd4c
	v_lshlrev_b32_e32 v1, 5, v0
	s_mov_b64 s[4:5], 0
	s_mov_b64 s[6:7], 0xffff
	v_mov_b32_e32 v6, s0
	s_waitcnt lgkmcnt(0)
	s_and_b32 s1, s1, 0xffff
	s_lshl_b32 s8, s1, 2
	s_add_u32 s2, s16, s18
	s_addc_u32 s3, s17, s19
	v_add_lshl_u32 v2, v0, s1, 2
	v_mov_b32_e32 v0, s3
	v_add_co_u32_e32 v1, vcc, s2, v1
	v_addc_co_u32_e32 v4, vcc, 0, v0, vcc
	v_add_co_u32_e32 v0, vcc, 16, v1
	v_addc_co_u32_e32 v1, vcc, 0, v4, vcc
	s_lshl_b32 s9, s1, 5
	v_mov_b32_e32 v7, s0
	v_pk_mov_b32 v[4:5], v[2:3], v[2:3] op_sel:[0,1]
.LBB27_24:                              ; =>This Inner Loop Header: Depth=1
	global_load_dwordx2 v[16:17], v3, s[12:13]
	global_load_dwordx4 v[8:11], v[0:1], off offset:-16
	global_load_dwordx4 v[12:15], v[0:1], off
	v_cmp_le_i64_e32 vcc, s[10:11], v[4:5]
	v_cmp_lt_u64_e64 s[0:1], s[6:7], v[4:5]
	v_add_co_u32_e64 v4, s[2:3], s8, v4
	v_addc_co_u32_e64 v5, s[2:3], v5, v6, s[2:3]
	s_or_b64 s[0:1], vcc, s[0:1]
	s_waitcnt vmcnt(2)
	v_readfirstlane_b32 s2, v16
	s_mul_i32 s3, s2, s15
	s_mul_hi_u32 s16, s2, s14
	v_mul_lo_u32 v2, v17, s14
	s_add_i32 s16, s16, s3
	s_mul_i32 s17, s2, s14
	v_add_u32_e32 v2, s16, v2
	s_waitcnt vmcnt(1)
	v_mul_lo_u32 v9, s17, v9
	v_mad_u64_u32 v[16:17], s[2:3], s17, v8, 0
	v_mul_lo_u32 v11, s17, v11
	v_mad_u64_u32 v[18:19], s[2:3], s17, v10, 0
	v_mul_lo_u32 v8, v2, v8
	v_mul_lo_u32 v10, v2, v10
	s_waitcnt vmcnt(0)
	v_mul_lo_u32 v13, s17, v13
	v_mad_u64_u32 v[20:21], s[2:3], s17, v12, 0
	v_mul_lo_u32 v15, s17, v15
	v_mad_u64_u32 v[22:23], s[2:3], s17, v14, 0
	v_mul_lo_u32 v12, v2, v12
	v_mul_lo_u32 v2, v2, v14
	v_add3_u32 v17, v17, v9, v8
	v_add3_u32 v19, v19, v11, v10
	s_and_b64 s[0:1], exec, s[0:1]
	v_add3_u32 v21, v21, v13, v12
	v_add3_u32 v23, v23, v15, v2
	global_store_dwordx4 v[0:1], v[16:19], off offset:-16
	global_store_dwordx4 v[0:1], v[20:23], off
	v_add_co_u32_e32 v0, vcc, s9, v0
	s_or_b64 s[4:5], s[0:1], s[4:5]
	v_addc_co_u32_e32 v1, vcc, v1, v7, vcc
	s_andn2_b64 exec, exec, s[4:5]
	s_cbranch_execnz .LBB27_24
.LBB27_25:
	s_endpgm
	.section	.rodata,"a",@progbits
	.p2align	6, 0x0
	.amdhsa_kernel _ZN2at6native12_GLOBAL__N_125multi_tensor_apply_kernelINS1_18TensorListMetadataILi1EEENS1_27BinaryOpScalarTensorFunctorIlLi1ELi1ELi0EEEJSt10multipliesIlEPllEEEvT_T0_DpT1_
		.amdhsa_group_segment_fixed_size 0
		.amdhsa_private_segment_fixed_size 0
		.amdhsa_kernarg_size 3648
		.amdhsa_user_sgpr_count 6
		.amdhsa_user_sgpr_private_segment_buffer 1
		.amdhsa_user_sgpr_dispatch_ptr 0
		.amdhsa_user_sgpr_queue_ptr 0
		.amdhsa_user_sgpr_kernarg_segment_ptr 1
		.amdhsa_user_sgpr_dispatch_id 0
		.amdhsa_user_sgpr_flat_scratch_init 0
		.amdhsa_user_sgpr_kernarg_preload_length 0
		.amdhsa_user_sgpr_kernarg_preload_offset 0
		.amdhsa_user_sgpr_private_segment_size 0
		.amdhsa_uses_dynamic_stack 0
		.amdhsa_system_sgpr_private_segment_wavefront_offset 0
		.amdhsa_system_sgpr_workgroup_id_x 1
		.amdhsa_system_sgpr_workgroup_id_y 0
		.amdhsa_system_sgpr_workgroup_id_z 0
		.amdhsa_system_sgpr_workgroup_info 0
		.amdhsa_system_vgpr_workitem_id 0
		.amdhsa_next_free_vgpr 26
		.amdhsa_next_free_sgpr 36
		.amdhsa_accum_offset 28
		.amdhsa_reserve_vcc 1
		.amdhsa_reserve_flat_scratch 0
		.amdhsa_float_round_mode_32 0
		.amdhsa_float_round_mode_16_64 0
		.amdhsa_float_denorm_mode_32 3
		.amdhsa_float_denorm_mode_16_64 3
		.amdhsa_dx10_clamp 1
		.amdhsa_ieee_mode 1
		.amdhsa_fp16_overflow 0
		.amdhsa_tg_split 0
		.amdhsa_exception_fp_ieee_invalid_op 0
		.amdhsa_exception_fp_denorm_src 0
		.amdhsa_exception_fp_ieee_div_zero 0
		.amdhsa_exception_fp_ieee_overflow 0
		.amdhsa_exception_fp_ieee_underflow 0
		.amdhsa_exception_fp_ieee_inexact 0
		.amdhsa_exception_int_div_zero 0
	.end_amdhsa_kernel
	.section	.text._ZN2at6native12_GLOBAL__N_125multi_tensor_apply_kernelINS1_18TensorListMetadataILi1EEENS1_27BinaryOpScalarTensorFunctorIlLi1ELi1ELi0EEEJSt10multipliesIlEPllEEEvT_T0_DpT1_,"axG",@progbits,_ZN2at6native12_GLOBAL__N_125multi_tensor_apply_kernelINS1_18TensorListMetadataILi1EEENS1_27BinaryOpScalarTensorFunctorIlLi1ELi1ELi0EEEJSt10multipliesIlEPllEEEvT_T0_DpT1_,comdat
.Lfunc_end27:
	.size	_ZN2at6native12_GLOBAL__N_125multi_tensor_apply_kernelINS1_18TensorListMetadataILi1EEENS1_27BinaryOpScalarTensorFunctorIlLi1ELi1ELi0EEEJSt10multipliesIlEPllEEEvT_T0_DpT1_, .Lfunc_end27-_ZN2at6native12_GLOBAL__N_125multi_tensor_apply_kernelINS1_18TensorListMetadataILi1EEENS1_27BinaryOpScalarTensorFunctorIlLi1ELi1ELi0EEEJSt10multipliesIlEPllEEEvT_T0_DpT1_
                                        ; -- End function
	.section	.AMDGPU.csdata,"",@progbits
; Kernel info:
; codeLenInByte = 1368
; NumSgprs: 40
; NumVgprs: 26
; NumAgprs: 0
; TotalNumVgprs: 26
; ScratchSize: 0
; MemoryBound: 0
; FloatMode: 240
; IeeeMode: 1
; LDSByteSize: 0 bytes/workgroup (compile time only)
; SGPRBlocks: 4
; VGPRBlocks: 3
; NumSGPRsForWavesPerEU: 40
; NumVGPRsForWavesPerEU: 26
; AccumOffset: 28
; Occupancy: 8
; WaveLimiterHint : 0
; COMPUTE_PGM_RSRC2:SCRATCH_EN: 0
; COMPUTE_PGM_RSRC2:USER_SGPR: 6
; COMPUTE_PGM_RSRC2:TRAP_HANDLER: 0
; COMPUTE_PGM_RSRC2:TGID_X_EN: 1
; COMPUTE_PGM_RSRC2:TGID_Y_EN: 0
; COMPUTE_PGM_RSRC2:TGID_Z_EN: 0
; COMPUTE_PGM_RSRC2:TIDIG_COMP_CNT: 0
; COMPUTE_PGM_RSRC3_GFX90A:ACCUM_OFFSET: 6
; COMPUTE_PGM_RSRC3_GFX90A:TG_SPLIT: 0
	.section	.text._ZN2at6native12_GLOBAL__N_125multi_tensor_apply_kernelINS1_18TensorListMetadataILi1EEENS1_27BinaryOpScalarTensorFunctorIsLi1ELi1ELi0EEEJSt10multipliesIsEPssEEEvT_T0_DpT1_,"axG",@progbits,_ZN2at6native12_GLOBAL__N_125multi_tensor_apply_kernelINS1_18TensorListMetadataILi1EEENS1_27BinaryOpScalarTensorFunctorIsLi1ELi1ELi0EEEJSt10multipliesIsEPssEEEvT_T0_DpT1_,comdat
	.globl	_ZN2at6native12_GLOBAL__N_125multi_tensor_apply_kernelINS1_18TensorListMetadataILi1EEENS1_27BinaryOpScalarTensorFunctorIsLi1ELi1ELi0EEEJSt10multipliesIsEPssEEEvT_T0_DpT1_ ; -- Begin function _ZN2at6native12_GLOBAL__N_125multi_tensor_apply_kernelINS1_18TensorListMetadataILi1EEENS1_27BinaryOpScalarTensorFunctorIsLi1ELi1ELi0EEEJSt10multipliesIsEPssEEEvT_T0_DpT1_
	.p2align	8
	.type	_ZN2at6native12_GLOBAL__N_125multi_tensor_apply_kernelINS1_18TensorListMetadataILi1EEENS1_27BinaryOpScalarTensorFunctorIsLi1ELi1ELi0EEEJSt10multipliesIsEPssEEEvT_T0_DpT1_,@function
_ZN2at6native12_GLOBAL__N_125multi_tensor_apply_kernelINS1_18TensorListMetadataILi1EEENS1_27BinaryOpScalarTensorFunctorIsLi1ELi1ELi0EEEJSt10multipliesIsEPssEEEvT_T0_DpT1_: ; @_ZN2at6native12_GLOBAL__N_125multi_tensor_apply_kernelINS1_18TensorListMetadataILi1EEENS1_27BinaryOpScalarTensorFunctorIsLi1ELi1ELi0EEEJSt10multipliesIsEPssEEEvT_T0_DpT1_
; %bb.0:
	v_mov_b32_e32 v1, s6
	global_load_ubyte v1, v1, s[4:5] offset:1760
	s_add_u32 s0, s4, s6
	s_mul_hi_u32 s1, s6, 3
	s_mul_i32 s6, s6, 3
	s_addc_u32 s2, s5, 0
	s_add_u32 s0, s0, s6
	s_addc_u32 s1, s2, s1
	s_load_dword s0, s[0:1], 0x820
	s_mov_b32 s7, 0
	s_load_dword s24, s[4:5], 0xd38
	s_waitcnt vmcnt(0)
	v_readfirstlane_b32 s1, v1
	s_lshl_b32 s1, s1, 3
	s_load_dwordx2 s[10:11], s[4:5], 0xd30
	s_load_dwordx2 s[2:3], s[4:5], s1 offset:0x370
	s_load_dwordx2 s[14:15], s[4:5], s1 offset:0x0
	s_waitcnt lgkmcnt(0)
	s_ashr_i32 s1, s0, 31
	s_lshl_b64 s[16:17], s[0:1], 17
	s_lshl_b64 s[0:1], s[0:1], 16
	s_and_b32 s6, s14, 7
	s_sub_u32 s12, s2, s0
	s_subb_u32 s13, s3, s1
	s_and_b32 s0, s2, 3
	s_mov_b32 s1, s7
	s_or_b64 s[0:1], s[6:7], s[0:1]
	s_cmp_eq_u64 s[0:1], 0
	s_cbranch_scc1 .LBB28_21
; %bb.1:
	v_cmp_lt_i64_e64 s[0:1], s[12:13], 1
	s_and_b64 vcc, exec, s[0:1]
	s_cbranch_vccnz .LBB28_20
; %bb.2:
	s_load_dword s0, s[4:5], 0xd4c
	v_mov_b32_e32 v2, 0x10000
	v_mov_b32_e32 v3, 0
	v_cmp_lt_u64_e32 vcc, s[12:13], v[2:3]
	v_lshlrev_b32_e32 v4, 1, v0
	s_waitcnt lgkmcnt(0)
	s_and_b32 s2, s0, 0xffff
	s_and_b64 s[0:1], vcc, exec
	s_cselect_b32 s19, s13, 0
	s_cselect_b32 s18, s12, 0x10000
	s_lshl_b32 s3, s2, 1
	s_lshl_b32 s26, s2, 2
	s_and_b32 s27, 0xffff, s24
	s_add_u32 s6, s14, s16
	s_addc_u32 s7, s15, s17
	v_mov_b32_e32 v5, s7
	v_add_co_u32_e32 v4, vcc, s6, v4
	s_mul_i32 s0, s2, 3
	v_addc_co_u32_e32 v5, vcc, 0, v5, vcc
	v_add_co_u32_e32 v10, vcc, s0, v0
	v_addc_co_u32_e64 v11, s[0:1], 0, 0, vcc
	v_add_co_u32_e32 v12, vcc, s3, v0
	v_addc_co_u32_e64 v13, s[0:1], 0, 0, vcc
	v_add_co_u32_e32 v14, vcc, s2, v0
	v_lshlrev_b32_e32 v6, 1, v14
	s_mov_b32 s25, 0
	v_addc_co_u32_e64 v15, s[0:1], 0, 0, vcc
	v_mov_b32_e32 v7, s7
	v_add_co_u32_e32 v6, vcc, s6, v6
	v_mov_b32_e32 v1, 0
	s_lshl_b32 s28, s2, 3
	s_mul_i32 s29, s2, 6
	s_mov_b32 s30, s25
	v_addc_co_u32_e32 v7, vcc, 0, v7, vcc
	s_mov_b64 s[20:21], 0
	v_pk_mov_b32 v[8:9], s[12:13], s[12:13] op_sel:[0,1]
	v_mov_b32_e32 v16, s25
	s_branch .LBB28_4
.LBB28_3:                               ;   in Loop: Header=BB28_4 Depth=1
	s_or_b64 exec, exec, s[0:1]
	s_add_u32 s20, s20, s26
	s_addc_u32 s21, s21, 0
	v_cmp_lt_i64_e32 vcc, s[20:21], v[8:9]
	v_cmp_lt_u64_e64 s[0:1], s[20:21], v[2:3]
	s_and_b64 s[0:1], vcc, s[0:1]
	v_add_co_u32_e32 v4, vcc, s28, v4
	v_addc_co_u32_e32 v5, vcc, v5, v16, vcc
	v_add_co_u32_e32 v6, vcc, s28, v6
	v_addc_co_u32_e32 v7, vcc, v7, v16, vcc
	s_and_b64 vcc, exec, s[0:1]
	s_cbranch_vccz .LBB28_20
.LBB28_4:                               ; =>This Inner Loop Header: Depth=1
	v_mov_b32_e32 v17, s21
	v_add_co_u32_e32 v18, vcc, s20, v0
	v_addc_co_u32_e32 v19, vcc, 0, v17, vcc
	v_cmp_gt_u64_e32 vcc, s[18:19], v[18:19]
	v_mov_b32_e32 v17, 0
	s_and_saveexec_b64 s[0:1], vcc
	s_cbranch_execz .LBB28_6
; %bb.5:                                ;   in Loop: Header=BB28_4 Depth=1
	global_load_ushort v17, v[4:5], off
.LBB28_6:                               ;   in Loop: Header=BB28_4 Depth=1
	s_or_b64 exec, exec, s[0:1]
	v_mov_b32_e32 v19, s21
	v_add_co_u32_e64 v18, s[0:1], s20, v14
	v_addc_co_u32_e64 v19, s[0:1], v15, v19, s[0:1]
	v_cmp_gt_u64_e64 s[0:1], s[18:19], v[18:19]
	v_mov_b32_e32 v18, 0
	v_mov_b32_e32 v19, 0
	s_and_saveexec_b64 s[2:3], s[0:1]
	s_cbranch_execz .LBB28_8
; %bb.7:                                ;   in Loop: Header=BB28_4 Depth=1
	global_load_ushort v19, v[6:7], off
.LBB28_8:                               ;   in Loop: Header=BB28_4 Depth=1
	s_or_b64 exec, exec, s[2:3]
	v_mov_b32_e32 v21, s21
	v_add_co_u32_e64 v20, s[2:3], s20, v12
	v_addc_co_u32_e64 v21, s[2:3], v13, v21, s[2:3]
	v_cmp_gt_u64_e64 s[2:3], s[18:19], v[20:21]
	s_and_saveexec_b64 s[8:9], s[2:3]
	s_cbranch_execz .LBB28_10
; %bb.9:                                ;   in Loop: Header=BB28_4 Depth=1
	v_mov_b32_e32 v18, s25
	v_add_co_u32_e64 v20, s[6:7], s26, v4
	v_addc_co_u32_e64 v21, s[6:7], v5, v18, s[6:7]
	global_load_ushort v18, v[20:21], off
.LBB28_10:                              ;   in Loop: Header=BB28_4 Depth=1
	s_or_b64 exec, exec, s[8:9]
	v_mov_b32_e32 v21, s21
	v_add_co_u32_e64 v20, s[6:7], s20, v10
	v_addc_co_u32_e64 v21, s[6:7], v11, v21, s[6:7]
	v_cmp_gt_u64_e64 s[6:7], s[18:19], v[20:21]
	v_mov_b32_e32 v20, 0
	s_and_saveexec_b64 s[22:23], s[6:7]
	s_cbranch_execz .LBB28_12
; %bb.11:                               ;   in Loop: Header=BB28_4 Depth=1
	v_mov_b32_e32 v21, s30
	v_add_co_u32_e64 v20, s[8:9], s29, v4
	v_addc_co_u32_e64 v21, s[8:9], v5, v21, s[8:9]
	global_load_ushort v20, v[20:21], off
.LBB28_12:                              ;   in Loop: Header=BB28_4 Depth=1
	s_or_b64 exec, exec, s[22:23]
	global_load_ushort v21, v1, s[10:11]
	s_waitcnt vmcnt(0)
	v_mul_lo_u32 v21, v21, s27
	s_and_saveexec_b64 s[8:9], vcc
	s_cbranch_execnz .LBB28_16
; %bb.13:                               ;   in Loop: Header=BB28_4 Depth=1
	s_or_b64 exec, exec, s[8:9]
	s_and_saveexec_b64 s[8:9], s[0:1]
	s_cbranch_execnz .LBB28_17
.LBB28_14:                              ;   in Loop: Header=BB28_4 Depth=1
	s_or_b64 exec, exec, s[8:9]
	s_and_saveexec_b64 s[0:1], s[2:3]
	s_cbranch_execnz .LBB28_18
.LBB28_15:                              ;   in Loop: Header=BB28_4 Depth=1
	s_or_b64 exec, exec, s[0:1]
	s_and_saveexec_b64 s[0:1], s[6:7]
	s_cbranch_execz .LBB28_3
	s_branch .LBB28_19
.LBB28_16:                              ;   in Loop: Header=BB28_4 Depth=1
	v_mul_lo_u16_e32 v17, v21, v17
	global_store_short v[4:5], v17, off
	s_or_b64 exec, exec, s[8:9]
	s_and_saveexec_b64 s[8:9], s[0:1]
	s_cbranch_execz .LBB28_14
.LBB28_17:                              ;   in Loop: Header=BB28_4 Depth=1
	v_mul_lo_u16_e32 v17, v21, v19
	global_store_short v[6:7], v17, off
	s_or_b64 exec, exec, s[8:9]
	s_and_saveexec_b64 s[0:1], s[2:3]
	s_cbranch_execz .LBB28_15
.LBB28_18:                              ;   in Loop: Header=BB28_4 Depth=1
	v_mul_lo_u16_e32 v17, v21, v18
	v_mov_b32_e32 v19, s25
	v_add_co_u32_e32 v18, vcc, s26, v4
	v_addc_co_u32_e32 v19, vcc, v5, v19, vcc
	global_store_short v[18:19], v17, off
	s_or_b64 exec, exec, s[0:1]
	s_and_saveexec_b64 s[0:1], s[6:7]
	s_cbranch_execz .LBB28_3
.LBB28_19:                              ;   in Loop: Header=BB28_4 Depth=1
	v_mov_b32_e32 v19, s30
	v_add_co_u32_e32 v18, vcc, s29, v4
	v_mul_lo_u16_e32 v17, v21, v20
	v_addc_co_u32_e32 v19, vcc, v5, v19, vcc
	global_store_short v[18:19], v17, off
	s_branch .LBB28_3
.LBB28_20:
	s_cbranch_execz .LBB28_22
	s_branch .LBB28_25
.LBB28_21:
.LBB28_22:
	v_mov_b32_e32 v3, 0
	v_lshlrev_b32_e32 v2, 2, v0
	s_mov_b32 s0, 0
	v_cmp_gt_i64_e32 vcc, s[12:13], v[2:3]
	s_and_saveexec_b64 s[2:3], vcc
	s_cbranch_execz .LBB28_25
; %bb.23:
	s_load_dword s1, s[4:5], 0xd4c
	s_and_b32 s6, 0xffff, s24
	v_lshlrev_b32_e32 v1, 3, v0
	s_mov_b64 s[4:5], 0xffff
	v_mov_b32_e32 v6, s0
	s_waitcnt lgkmcnt(0)
	s_and_b32 s1, s1, 0xffff
	s_add_u32 s2, s14, s16
	s_addc_u32 s3, s15, s17
	v_mov_b32_e32 v2, s3
	v_add_co_u32_e32 v4, vcc, s2, v1
	v_addc_co_u32_e32 v5, vcc, 0, v2, vcc
	v_add_lshl_u32 v2, v0, s1, 2
	s_lshl_b32 s7, s1, 3
	s_lshl_b32 s8, s1, 2
	s_mov_b64 s[2:3], 0
	v_mov_b32_e32 v7, s0
	v_pk_mov_b32 v[0:1], v[2:3], v[2:3] op_sel:[0,1]
.LBB28_24:                              ; =>This Inner Loop Header: Depth=1
	global_load_ushort v2, v3, s[10:11]
	global_load_dwordx2 v[8:9], v[4:5], off
	v_cmp_le_i64_e32 vcc, s[12:13], v[0:1]
	v_cmp_lt_u64_e64 s[0:1], s[4:5], v[0:1]
	s_or_b64 s[0:1], vcc, s[0:1]
	s_and_b64 s[0:1], exec, s[0:1]
	s_or_b64 s[2:3], s[0:1], s[2:3]
	s_waitcnt vmcnt(1)
	v_mul_lo_u32 v2, v2, s6
	s_waitcnt vmcnt(0)
	v_mul_lo_u16_sdwa v10, v2, v8 dst_sel:WORD_1 dst_unused:UNUSED_PAD src0_sel:DWORD src1_sel:WORD_1
	v_mul_lo_u16_sdwa v11, v2, v9 dst_sel:WORD_1 dst_unused:UNUSED_PAD src0_sel:DWORD src1_sel:WORD_1
	v_mul_lo_u16_e32 v9, v2, v9
	v_mul_lo_u16_e32 v2, v2, v8
	v_or_b32_e32 v9, v11, v9
	v_or_b32_e32 v8, v10, v2
	global_store_dwordx2 v[4:5], v[8:9], off
	v_add_co_u32_e32 v4, vcc, s7, v4
	v_addc_co_u32_e32 v5, vcc, v5, v6, vcc
	v_add_co_u32_e32 v0, vcc, s8, v0
	v_addc_co_u32_e32 v1, vcc, v1, v7, vcc
	s_andn2_b64 exec, exec, s[2:3]
	s_cbranch_execnz .LBB28_24
.LBB28_25:
	s_endpgm
	.section	.rodata,"a",@progbits
	.p2align	6, 0x0
	.amdhsa_kernel _ZN2at6native12_GLOBAL__N_125multi_tensor_apply_kernelINS1_18TensorListMetadataILi1EEENS1_27BinaryOpScalarTensorFunctorIsLi1ELi1ELi0EEEJSt10multipliesIsEPssEEEvT_T0_DpT1_
		.amdhsa_group_segment_fixed_size 0
		.amdhsa_private_segment_fixed_size 0
		.amdhsa_kernarg_size 3648
		.amdhsa_user_sgpr_count 6
		.amdhsa_user_sgpr_private_segment_buffer 1
		.amdhsa_user_sgpr_dispatch_ptr 0
		.amdhsa_user_sgpr_queue_ptr 0
		.amdhsa_user_sgpr_kernarg_segment_ptr 1
		.amdhsa_user_sgpr_dispatch_id 0
		.amdhsa_user_sgpr_flat_scratch_init 0
		.amdhsa_user_sgpr_kernarg_preload_length 0
		.amdhsa_user_sgpr_kernarg_preload_offset 0
		.amdhsa_user_sgpr_private_segment_size 0
		.amdhsa_uses_dynamic_stack 0
		.amdhsa_system_sgpr_private_segment_wavefront_offset 0
		.amdhsa_system_sgpr_workgroup_id_x 1
		.amdhsa_system_sgpr_workgroup_id_y 0
		.amdhsa_system_sgpr_workgroup_id_z 0
		.amdhsa_system_sgpr_workgroup_info 0
		.amdhsa_system_vgpr_workitem_id 0
		.amdhsa_next_free_vgpr 22
		.amdhsa_next_free_sgpr 31
		.amdhsa_accum_offset 24
		.amdhsa_reserve_vcc 1
		.amdhsa_reserve_flat_scratch 0
		.amdhsa_float_round_mode_32 0
		.amdhsa_float_round_mode_16_64 0
		.amdhsa_float_denorm_mode_32 3
		.amdhsa_float_denorm_mode_16_64 3
		.amdhsa_dx10_clamp 1
		.amdhsa_ieee_mode 1
		.amdhsa_fp16_overflow 0
		.amdhsa_tg_split 0
		.amdhsa_exception_fp_ieee_invalid_op 0
		.amdhsa_exception_fp_denorm_src 0
		.amdhsa_exception_fp_ieee_div_zero 0
		.amdhsa_exception_fp_ieee_overflow 0
		.amdhsa_exception_fp_ieee_underflow 0
		.amdhsa_exception_fp_ieee_inexact 0
		.amdhsa_exception_int_div_zero 0
	.end_amdhsa_kernel
	.section	.text._ZN2at6native12_GLOBAL__N_125multi_tensor_apply_kernelINS1_18TensorListMetadataILi1EEENS1_27BinaryOpScalarTensorFunctorIsLi1ELi1ELi0EEEJSt10multipliesIsEPssEEEvT_T0_DpT1_,"axG",@progbits,_ZN2at6native12_GLOBAL__N_125multi_tensor_apply_kernelINS1_18TensorListMetadataILi1EEENS1_27BinaryOpScalarTensorFunctorIsLi1ELi1ELi0EEEJSt10multipliesIsEPssEEEvT_T0_DpT1_,comdat
.Lfunc_end28:
	.size	_ZN2at6native12_GLOBAL__N_125multi_tensor_apply_kernelINS1_18TensorListMetadataILi1EEENS1_27BinaryOpScalarTensorFunctorIsLi1ELi1ELi0EEEJSt10multipliesIsEPssEEEvT_T0_DpT1_, .Lfunc_end28-_ZN2at6native12_GLOBAL__N_125multi_tensor_apply_kernelINS1_18TensorListMetadataILi1EEENS1_27BinaryOpScalarTensorFunctorIsLi1ELi1ELi0EEEJSt10multipliesIsEPssEEEvT_T0_DpT1_
                                        ; -- End function
	.section	.AMDGPU.csdata,"",@progbits
; Kernel info:
; codeLenInByte = 1064
; NumSgprs: 35
; NumVgprs: 22
; NumAgprs: 0
; TotalNumVgprs: 22
; ScratchSize: 0
; MemoryBound: 0
; FloatMode: 240
; IeeeMode: 1
; LDSByteSize: 0 bytes/workgroup (compile time only)
; SGPRBlocks: 4
; VGPRBlocks: 2
; NumSGPRsForWavesPerEU: 35
; NumVGPRsForWavesPerEU: 22
; AccumOffset: 24
; Occupancy: 8
; WaveLimiterHint : 0
; COMPUTE_PGM_RSRC2:SCRATCH_EN: 0
; COMPUTE_PGM_RSRC2:USER_SGPR: 6
; COMPUTE_PGM_RSRC2:TRAP_HANDLER: 0
; COMPUTE_PGM_RSRC2:TGID_X_EN: 1
; COMPUTE_PGM_RSRC2:TGID_Y_EN: 0
; COMPUTE_PGM_RSRC2:TGID_Z_EN: 0
; COMPUTE_PGM_RSRC2:TIDIG_COMP_CNT: 0
; COMPUTE_PGM_RSRC3_GFX90A:ACCUM_OFFSET: 5
; COMPUTE_PGM_RSRC3_GFX90A:TG_SPLIT: 0
	.section	.text._ZN2at6native12_GLOBAL__N_125multi_tensor_apply_kernelINS1_18TensorListMetadataILi1EEENS1_27BinaryOpScalarTensorFunctorIdLi1ELi1ELi0EEEJSt10multipliesIdEPddEEEvT_T0_DpT1_,"axG",@progbits,_ZN2at6native12_GLOBAL__N_125multi_tensor_apply_kernelINS1_18TensorListMetadataILi1EEENS1_27BinaryOpScalarTensorFunctorIdLi1ELi1ELi0EEEJSt10multipliesIdEPddEEEvT_T0_DpT1_,comdat
	.globl	_ZN2at6native12_GLOBAL__N_125multi_tensor_apply_kernelINS1_18TensorListMetadataILi1EEENS1_27BinaryOpScalarTensorFunctorIdLi1ELi1ELi0EEEJSt10multipliesIdEPddEEEvT_T0_DpT1_ ; -- Begin function _ZN2at6native12_GLOBAL__N_125multi_tensor_apply_kernelINS1_18TensorListMetadataILi1EEENS1_27BinaryOpScalarTensorFunctorIdLi1ELi1ELi0EEEJSt10multipliesIdEPddEEEvT_T0_DpT1_
	.p2align	8
	.type	_ZN2at6native12_GLOBAL__N_125multi_tensor_apply_kernelINS1_18TensorListMetadataILi1EEENS1_27BinaryOpScalarTensorFunctorIdLi1ELi1ELi0EEEJSt10multipliesIdEPddEEEvT_T0_DpT1_,@function
_ZN2at6native12_GLOBAL__N_125multi_tensor_apply_kernelINS1_18TensorListMetadataILi1EEENS1_27BinaryOpScalarTensorFunctorIdLi1ELi1ELi0EEEJSt10multipliesIdEPddEEEvT_T0_DpT1_: ; @_ZN2at6native12_GLOBAL__N_125multi_tensor_apply_kernelINS1_18TensorListMetadataILi1EEENS1_27BinaryOpScalarTensorFunctorIdLi1ELi1ELi0EEEJSt10multipliesIdEPddEEEvT_T0_DpT1_
; %bb.0:
	v_mov_b32_e32 v1, s6
	global_load_ubyte v1, v1, s[4:5] offset:1760
	s_add_u32 s0, s4, s6
	s_mul_hi_u32 s1, s6, 3
	s_mul_i32 s6, s6, 3
	s_addc_u32 s2, s5, 0
	s_add_u32 s0, s0, s6
	s_addc_u32 s1, s2, s1
	s_load_dword s0, s[0:1], 0x820
	s_mov_b32 s7, 0
	s_load_dwordx4 s[12:15], s[4:5], 0xd30
	s_waitcnt vmcnt(0)
	v_readfirstlane_b32 s1, v1
	s_lshl_b32 s1, s1, 3
	s_load_dwordx2 s[2:3], s[4:5], s1 offset:0x370
	s_load_dwordx2 s[16:17], s[4:5], s1 offset:0x0
	s_waitcnt lgkmcnt(0)
	s_ashr_i32 s1, s0, 31
	s_lshl_b64 s[18:19], s[0:1], 19
	s_lshl_b64 s[0:1], s[0:1], 16
	s_and_b32 s6, s16, 31
	s_sub_u32 s10, s2, s0
	s_subb_u32 s11, s3, s1
	s_and_b32 s0, s2, 3
	s_mov_b32 s1, s7
	s_or_b64 s[0:1], s[6:7], s[0:1]
	s_cmp_eq_u64 s[0:1], 0
	s_cbranch_scc1 .LBB29_21
; %bb.1:
	v_cmp_lt_i64_e64 s[0:1], s[10:11], 1
	s_and_b64 vcc, exec, s[0:1]
	s_cbranch_vccnz .LBB29_20
; %bb.2:
	s_load_dword s0, s[4:5], 0xd4c
	v_mov_b32_e32 v2, 0x10000
	v_mov_b32_e32 v3, 0
	v_cmp_lt_u64_e32 vcc, s[10:11], v[2:3]
	v_lshlrev_b32_e32 v2, 3, v0
	s_waitcnt lgkmcnt(0)
	s_and_b32 s3, s0, 0xffff
	s_and_b64 s[0:1], vcc, exec
	s_cselect_b32 s21, s11, 0
	s_cselect_b32 s20, s10, 0x10000
	s_lshl_b32 s6, s3, 1
	s_lshl_b32 s26, s3, 2
	s_add_u32 s7, s16, s18
	s_addc_u32 s8, s17, s19
	v_mov_b32_e32 v3, s8
	v_add_co_u32_e32 v2, vcc, s7, v2
	s_mul_i32 s0, s3, 3
	v_addc_co_u32_e32 v3, vcc, 0, v3, vcc
	v_add_co_u32_e32 v18, vcc, s0, v0
	v_addc_co_u32_e64 v19, s[0:1], 0, 0, vcc
	v_add_co_u32_e32 v20, vcc, s6, v0
	v_addc_co_u32_e64 v21, s[0:1], 0, 0, vcc
	v_add_co_u32_e32 v22, vcc, s3, v0
	v_lshlrev_b32_e32 v4, 3, v22
	s_mov_b32 s2, 0
	v_addc_co_u32_e64 v23, s[0:1], 0, 0, vcc
	v_mov_b32_e32 v5, s8
	v_add_co_u32_e32 v4, vcc, s7, v4
	v_mov_b32_e32 v1, 0
	s_lshl_b32 s27, s3, 5
	s_mul_i32 s28, s3, 24
	s_mov_b32 s29, s2
	s_lshl_b32 s30, s3, 4
	s_mov_b32 s31, s2
	v_addc_co_u32_e32 v5, vcc, 0, v5, vcc
	s_mov_b64 s[22:23], 0
	v_pk_mov_b32 v[6:7], s[10:11], s[10:11] op_sel:[0,1]
	v_mov_b32_e32 v24, s2
	s_branch .LBB29_4
.LBB29_3:                               ;   in Loop: Header=BB29_4 Depth=1
	s_or_b64 exec, exec, s[0:1]
	s_add_u32 s22, s22, s26
	v_mov_b32_e32 v8, 0x10000
	s_addc_u32 s23, s23, 0
	v_mov_b32_e32 v9, 0
	v_cmp_lt_i64_e32 vcc, s[22:23], v[6:7]
	v_cmp_lt_u64_e64 s[0:1], s[22:23], v[8:9]
	s_and_b64 s[0:1], vcc, s[0:1]
	v_add_co_u32_e32 v2, vcc, s27, v2
	v_addc_co_u32_e32 v3, vcc, v3, v24, vcc
	v_add_co_u32_e32 v4, vcc, s27, v4
	v_addc_co_u32_e32 v5, vcc, v5, v24, vcc
	s_and_b64 vcc, exec, s[0:1]
	s_cbranch_vccz .LBB29_20
.LBB29_4:                               ; =>This Inner Loop Header: Depth=1
	v_mov_b32_e32 v9, s23
	v_add_co_u32_e32 v8, vcc, s22, v0
	v_addc_co_u32_e32 v9, vcc, 0, v9, vcc
	v_cmp_gt_u64_e32 vcc, s[20:21], v[8:9]
	v_pk_mov_b32 v[8:9], 0, 0
	v_pk_mov_b32 v[10:11], v[8:9], v[8:9] op_sel:[0,1]
	s_and_saveexec_b64 s[0:1], vcc
	s_cbranch_execz .LBB29_6
; %bb.5:                                ;   in Loop: Header=BB29_4 Depth=1
	global_load_dwordx2 v[10:11], v[2:3], off
.LBB29_6:                               ;   in Loop: Header=BB29_4 Depth=1
	s_or_b64 exec, exec, s[0:1]
	v_mov_b32_e32 v13, s23
	v_add_co_u32_e64 v12, s[0:1], s22, v22
	v_addc_co_u32_e64 v13, s[0:1], v23, v13, s[0:1]
	v_cmp_gt_u64_e64 s[0:1], s[20:21], v[12:13]
	s_and_saveexec_b64 s[2:3], s[0:1]
	s_cbranch_execz .LBB29_8
; %bb.7:                                ;   in Loop: Header=BB29_4 Depth=1
	global_load_dwordx2 v[8:9], v[4:5], off
.LBB29_8:                               ;   in Loop: Header=BB29_4 Depth=1
	s_or_b64 exec, exec, s[2:3]
	v_mov_b32_e32 v13, s23
	v_add_co_u32_e64 v12, s[2:3], s22, v20
	v_addc_co_u32_e64 v13, s[2:3], v21, v13, s[2:3]
	v_cmp_gt_u64_e64 s[2:3], s[20:21], v[12:13]
	v_pk_mov_b32 v[12:13], 0, 0
	v_pk_mov_b32 v[14:15], v[12:13], v[12:13] op_sel:[0,1]
	s_and_saveexec_b64 s[8:9], s[2:3]
	s_cbranch_execz .LBB29_10
; %bb.9:                                ;   in Loop: Header=BB29_4 Depth=1
	v_mov_b32_e32 v15, s31
	v_add_co_u32_e64 v14, s[6:7], s30, v2
	v_addc_co_u32_e64 v15, s[6:7], v3, v15, s[6:7]
	global_load_dwordx2 v[14:15], v[14:15], off
.LBB29_10:                              ;   in Loop: Header=BB29_4 Depth=1
	s_or_b64 exec, exec, s[8:9]
	v_mov_b32_e32 v17, s23
	v_add_co_u32_e64 v16, s[6:7], s22, v18
	v_addc_co_u32_e64 v17, s[6:7], v19, v17, s[6:7]
	v_cmp_gt_u64_e64 s[6:7], s[20:21], v[16:17]
	s_and_saveexec_b64 s[24:25], s[6:7]
	s_cbranch_execz .LBB29_12
; %bb.11:                               ;   in Loop: Header=BB29_4 Depth=1
	v_mov_b32_e32 v13, s29
	v_add_co_u32_e64 v12, s[8:9], s28, v2
	v_addc_co_u32_e64 v13, s[8:9], v3, v13, s[8:9]
	global_load_dwordx2 v[12:13], v[12:13], off
.LBB29_12:                              ;   in Loop: Header=BB29_4 Depth=1
	s_or_b64 exec, exec, s[24:25]
	global_load_dwordx2 v[16:17], v1, s[12:13]
	s_waitcnt vmcnt(0)
	v_mul_f64 v[16:17], v[16:17], s[14:15]
	s_and_saveexec_b64 s[8:9], vcc
	s_cbranch_execnz .LBB29_16
; %bb.13:                               ;   in Loop: Header=BB29_4 Depth=1
	s_or_b64 exec, exec, s[8:9]
	s_and_saveexec_b64 s[8:9], s[0:1]
	s_cbranch_execnz .LBB29_17
.LBB29_14:                              ;   in Loop: Header=BB29_4 Depth=1
	s_or_b64 exec, exec, s[8:9]
	s_and_saveexec_b64 s[0:1], s[2:3]
	s_cbranch_execnz .LBB29_18
.LBB29_15:                              ;   in Loop: Header=BB29_4 Depth=1
	s_or_b64 exec, exec, s[0:1]
	s_and_saveexec_b64 s[0:1], s[6:7]
	s_cbranch_execz .LBB29_3
	s_branch .LBB29_19
.LBB29_16:                              ;   in Loop: Header=BB29_4 Depth=1
	v_mul_f64 v[10:11], v[10:11], v[16:17]
	global_store_dwordx2 v[2:3], v[10:11], off
	s_or_b64 exec, exec, s[8:9]
	s_and_saveexec_b64 s[8:9], s[0:1]
	s_cbranch_execz .LBB29_14
.LBB29_17:                              ;   in Loop: Header=BB29_4 Depth=1
	v_mul_f64 v[8:9], v[8:9], v[16:17]
	global_store_dwordx2 v[4:5], v[8:9], off
	s_or_b64 exec, exec, s[8:9]
	s_and_saveexec_b64 s[0:1], s[2:3]
	s_cbranch_execz .LBB29_15
.LBB29_18:                              ;   in Loop: Header=BB29_4 Depth=1
	v_mov_b32_e32 v11, s31
	v_add_co_u32_e32 v10, vcc, s30, v2
	v_mul_f64 v[8:9], v[14:15], v[16:17]
	v_addc_co_u32_e32 v11, vcc, v3, v11, vcc
	global_store_dwordx2 v[10:11], v[8:9], off
	s_or_b64 exec, exec, s[0:1]
	s_and_saveexec_b64 s[0:1], s[6:7]
	s_cbranch_execz .LBB29_3
.LBB29_19:                              ;   in Loop: Header=BB29_4 Depth=1
	v_mov_b32_e32 v11, s29
	v_add_co_u32_e32 v10, vcc, s28, v2
	v_mul_f64 v[8:9], v[12:13], v[16:17]
	v_addc_co_u32_e32 v11, vcc, v3, v11, vcc
	global_store_dwordx2 v[10:11], v[8:9], off
	s_branch .LBB29_3
.LBB29_20:
	s_cbranch_execz .LBB29_22
	s_branch .LBB29_25
.LBB29_21:
.LBB29_22:
	v_mov_b32_e32 v3, 0
	v_lshlrev_b32_e32 v2, 2, v0
	s_mov_b32 s0, 0
	v_cmp_gt_i64_e32 vcc, s[10:11], v[2:3]
	s_and_saveexec_b64 s[2:3], vcc
	s_cbranch_execz .LBB29_25
; %bb.23:
	s_load_dword s1, s[4:5], 0xd4c
	v_lshlrev_b32_e32 v1, 5, v0
	s_mov_b64 s[4:5], 0
	s_mov_b64 s[6:7], 0xffff
	v_mov_b32_e32 v6, s0
	s_waitcnt lgkmcnt(0)
	s_and_b32 s1, s1, 0xffff
	s_lshl_b32 s8, s1, 2
	s_add_u32 s2, s16, s18
	s_addc_u32 s3, s17, s19
	v_add_lshl_u32 v2, v0, s1, 2
	v_mov_b32_e32 v0, s3
	v_add_co_u32_e32 v1, vcc, s2, v1
	v_addc_co_u32_e32 v4, vcc, 0, v0, vcc
	v_add_co_u32_e32 v0, vcc, 16, v1
	v_addc_co_u32_e32 v1, vcc, 0, v4, vcc
	s_lshl_b32 s9, s1, 5
	v_mov_b32_e32 v7, s0
	v_pk_mov_b32 v[4:5], v[2:3], v[2:3] op_sel:[0,1]
.LBB29_24:                              ; =>This Inner Loop Header: Depth=1
	global_load_dwordx2 v[16:17], v3, s[12:13]
	global_load_dwordx4 v[8:11], v[0:1], off offset:-16
	global_load_dwordx4 v[12:15], v[0:1], off
	v_cmp_le_i64_e32 vcc, s[10:11], v[4:5]
	v_cmp_lt_u64_e64 s[0:1], s[6:7], v[4:5]
	s_or_b64 s[0:1], vcc, s[0:1]
	v_add_co_u32_e64 v4, s[2:3], s8, v4
	s_and_b64 s[0:1], exec, s[0:1]
	v_addc_co_u32_e64 v5, s[2:3], v5, v6, s[2:3]
	s_or_b64 s[4:5], s[0:1], s[4:5]
	s_waitcnt vmcnt(2)
	v_mul_f64 v[16:17], v[16:17], s[14:15]
	s_waitcnt vmcnt(1)
	v_mul_f64 v[8:9], v[8:9], v[16:17]
	v_mul_f64 v[10:11], v[10:11], v[16:17]
	s_waitcnt vmcnt(0)
	v_mul_f64 v[12:13], v[12:13], v[16:17]
	v_mul_f64 v[14:15], v[14:15], v[16:17]
	global_store_dwordx4 v[0:1], v[8:11], off offset:-16
	global_store_dwordx4 v[0:1], v[12:15], off
	v_add_co_u32_e32 v0, vcc, s9, v0
	v_addc_co_u32_e32 v1, vcc, v1, v7, vcc
	s_andn2_b64 exec, exec, s[4:5]
	s_cbranch_execnz .LBB29_24
.LBB29_25:
	s_endpgm
	.section	.rodata,"a",@progbits
	.p2align	6, 0x0
	.amdhsa_kernel _ZN2at6native12_GLOBAL__N_125multi_tensor_apply_kernelINS1_18TensorListMetadataILi1EEENS1_27BinaryOpScalarTensorFunctorIdLi1ELi1ELi0EEEJSt10multipliesIdEPddEEEvT_T0_DpT1_
		.amdhsa_group_segment_fixed_size 0
		.amdhsa_private_segment_fixed_size 0
		.amdhsa_kernarg_size 3648
		.amdhsa_user_sgpr_count 6
		.amdhsa_user_sgpr_private_segment_buffer 1
		.amdhsa_user_sgpr_dispatch_ptr 0
		.amdhsa_user_sgpr_queue_ptr 0
		.amdhsa_user_sgpr_kernarg_segment_ptr 1
		.amdhsa_user_sgpr_dispatch_id 0
		.amdhsa_user_sgpr_flat_scratch_init 0
		.amdhsa_user_sgpr_kernarg_preload_length 0
		.amdhsa_user_sgpr_kernarg_preload_offset 0
		.amdhsa_user_sgpr_private_segment_size 0
		.amdhsa_uses_dynamic_stack 0
		.amdhsa_system_sgpr_private_segment_wavefront_offset 0
		.amdhsa_system_sgpr_workgroup_id_x 1
		.amdhsa_system_sgpr_workgroup_id_y 0
		.amdhsa_system_sgpr_workgroup_id_z 0
		.amdhsa_system_sgpr_workgroup_info 0
		.amdhsa_system_vgpr_workitem_id 0
		.amdhsa_next_free_vgpr 25
		.amdhsa_next_free_sgpr 32
		.amdhsa_accum_offset 28
		.amdhsa_reserve_vcc 1
		.amdhsa_reserve_flat_scratch 0
		.amdhsa_float_round_mode_32 0
		.amdhsa_float_round_mode_16_64 0
		.amdhsa_float_denorm_mode_32 3
		.amdhsa_float_denorm_mode_16_64 3
		.amdhsa_dx10_clamp 1
		.amdhsa_ieee_mode 1
		.amdhsa_fp16_overflow 0
		.amdhsa_tg_split 0
		.amdhsa_exception_fp_ieee_invalid_op 0
		.amdhsa_exception_fp_denorm_src 0
		.amdhsa_exception_fp_ieee_div_zero 0
		.amdhsa_exception_fp_ieee_overflow 0
		.amdhsa_exception_fp_ieee_underflow 0
		.amdhsa_exception_fp_ieee_inexact 0
		.amdhsa_exception_int_div_zero 0
	.end_amdhsa_kernel
	.section	.text._ZN2at6native12_GLOBAL__N_125multi_tensor_apply_kernelINS1_18TensorListMetadataILi1EEENS1_27BinaryOpScalarTensorFunctorIdLi1ELi1ELi0EEEJSt10multipliesIdEPddEEEvT_T0_DpT1_,"axG",@progbits,_ZN2at6native12_GLOBAL__N_125multi_tensor_apply_kernelINS1_18TensorListMetadataILi1EEENS1_27BinaryOpScalarTensorFunctorIdLi1ELi1ELi0EEEJSt10multipliesIdEPddEEEvT_T0_DpT1_,comdat
.Lfunc_end29:
	.size	_ZN2at6native12_GLOBAL__N_125multi_tensor_apply_kernelINS1_18TensorListMetadataILi1EEENS1_27BinaryOpScalarTensorFunctorIdLi1ELi1ELi0EEEJSt10multipliesIdEPddEEEvT_T0_DpT1_, .Lfunc_end29-_ZN2at6native12_GLOBAL__N_125multi_tensor_apply_kernelINS1_18TensorListMetadataILi1EEENS1_27BinaryOpScalarTensorFunctorIdLi1ELi1ELi0EEEJSt10multipliesIdEPddEEEvT_T0_DpT1_
                                        ; -- End function
	.section	.AMDGPU.csdata,"",@progbits
; Kernel info:
; codeLenInByte = 1128
; NumSgprs: 36
; NumVgprs: 25
; NumAgprs: 0
; TotalNumVgprs: 25
; ScratchSize: 0
; MemoryBound: 0
; FloatMode: 240
; IeeeMode: 1
; LDSByteSize: 0 bytes/workgroup (compile time only)
; SGPRBlocks: 4
; VGPRBlocks: 3
; NumSGPRsForWavesPerEU: 36
; NumVGPRsForWavesPerEU: 25
; AccumOffset: 28
; Occupancy: 8
; WaveLimiterHint : 0
; COMPUTE_PGM_RSRC2:SCRATCH_EN: 0
; COMPUTE_PGM_RSRC2:USER_SGPR: 6
; COMPUTE_PGM_RSRC2:TRAP_HANDLER: 0
; COMPUTE_PGM_RSRC2:TGID_X_EN: 1
; COMPUTE_PGM_RSRC2:TGID_Y_EN: 0
; COMPUTE_PGM_RSRC2:TGID_Z_EN: 0
; COMPUTE_PGM_RSRC2:TIDIG_COMP_CNT: 0
; COMPUTE_PGM_RSRC3_GFX90A:ACCUM_OFFSET: 6
; COMPUTE_PGM_RSRC3_GFX90A:TG_SPLIT: 0
	.section	.text._ZN2at6native12_GLOBAL__N_125multi_tensor_apply_kernelINS1_18TensorListMetadataILi1EEENS1_27BinaryOpScalarTensorFunctorIfLi1ELi1ELi0EEEJSt10multipliesIfEPffEEEvT_T0_DpT1_,"axG",@progbits,_ZN2at6native12_GLOBAL__N_125multi_tensor_apply_kernelINS1_18TensorListMetadataILi1EEENS1_27BinaryOpScalarTensorFunctorIfLi1ELi1ELi0EEEJSt10multipliesIfEPffEEEvT_T0_DpT1_,comdat
	.globl	_ZN2at6native12_GLOBAL__N_125multi_tensor_apply_kernelINS1_18TensorListMetadataILi1EEENS1_27BinaryOpScalarTensorFunctorIfLi1ELi1ELi0EEEJSt10multipliesIfEPffEEEvT_T0_DpT1_ ; -- Begin function _ZN2at6native12_GLOBAL__N_125multi_tensor_apply_kernelINS1_18TensorListMetadataILi1EEENS1_27BinaryOpScalarTensorFunctorIfLi1ELi1ELi0EEEJSt10multipliesIfEPffEEEvT_T0_DpT1_
	.p2align	8
	.type	_ZN2at6native12_GLOBAL__N_125multi_tensor_apply_kernelINS1_18TensorListMetadataILi1EEENS1_27BinaryOpScalarTensorFunctorIfLi1ELi1ELi0EEEJSt10multipliesIfEPffEEEvT_T0_DpT1_,@function
_ZN2at6native12_GLOBAL__N_125multi_tensor_apply_kernelINS1_18TensorListMetadataILi1EEENS1_27BinaryOpScalarTensorFunctorIfLi1ELi1ELi0EEEJSt10multipliesIfEPffEEEvT_T0_DpT1_: ; @_ZN2at6native12_GLOBAL__N_125multi_tensor_apply_kernelINS1_18TensorListMetadataILi1EEENS1_27BinaryOpScalarTensorFunctorIfLi1ELi1ELi0EEEJSt10multipliesIfEPffEEEvT_T0_DpT1_
; %bb.0:
	v_mov_b32_e32 v1, s6
	global_load_ubyte v1, v1, s[4:5] offset:1760
	s_add_u32 s0, s4, s6
	s_mul_hi_u32 s1, s6, 3
	s_mul_i32 s6, s6, 3
	s_addc_u32 s2, s5, 0
	s_add_u32 s0, s0, s6
	s_addc_u32 s1, s2, s1
	s_load_dword s0, s[0:1], 0x820
	s_mov_b32 s7, 0
	s_load_dword s24, s[4:5], 0xd38
	s_waitcnt vmcnt(0)
	v_readfirstlane_b32 s1, v1
	s_lshl_b32 s1, s1, 3
	s_load_dwordx2 s[10:11], s[4:5], 0xd30
	s_load_dwordx2 s[2:3], s[4:5], s1 offset:0x370
	s_load_dwordx2 s[14:15], s[4:5], s1 offset:0x0
	s_waitcnt lgkmcnt(0)
	s_ashr_i32 s1, s0, 31
	s_lshl_b64 s[16:17], s[0:1], 18
	s_lshl_b64 s[0:1], s[0:1], 16
	s_and_b32 s6, s14, 15
	s_sub_u32 s12, s2, s0
	s_subb_u32 s13, s3, s1
	s_and_b32 s0, s2, 3
	s_mov_b32 s1, s7
	s_or_b64 s[0:1], s[6:7], s[0:1]
	s_cmp_eq_u64 s[0:1], 0
	s_cbranch_scc1 .LBB30_21
; %bb.1:
	v_cmp_lt_i64_e64 s[0:1], s[12:13], 1
	s_and_b64 vcc, exec, s[0:1]
	s_cbranch_vccnz .LBB30_20
; %bb.2:
	s_load_dword s0, s[4:5], 0xd4c
	v_mov_b32_e32 v2, 0x10000
	v_mov_b32_e32 v3, 0
	v_cmp_lt_u64_e32 vcc, s[12:13], v[2:3]
	v_lshlrev_b32_e32 v4, 2, v0
	s_waitcnt lgkmcnt(0)
	s_and_b32 s3, s0, 0xffff
	s_and_b64 s[0:1], vcc, exec
	s_cselect_b32 s19, s13, 0
	s_cselect_b32 s18, s12, 0x10000
	s_lshl_b32 s6, s3, 1
	s_lshl_b32 s25, s3, 2
	s_add_u32 s7, s14, s16
	s_addc_u32 s8, s15, s17
	v_mov_b32_e32 v5, s8
	v_add_co_u32_e32 v4, vcc, s7, v4
	s_mul_i32 s0, s3, 3
	v_addc_co_u32_e32 v5, vcc, 0, v5, vcc
	v_add_co_u32_e32 v10, vcc, s0, v0
	v_addc_co_u32_e64 v11, s[0:1], 0, 0, vcc
	v_add_co_u32_e32 v12, vcc, s6, v0
	v_addc_co_u32_e64 v13, s[0:1], 0, 0, vcc
	v_add_co_u32_e32 v14, vcc, s3, v0
	v_lshlrev_b32_e32 v6, 2, v14
	s_mov_b32 s2, 0
	v_addc_co_u32_e64 v15, s[0:1], 0, 0, vcc
	v_mov_b32_e32 v7, s8
	v_add_co_u32_e32 v6, vcc, s7, v6
	v_mov_b32_e32 v1, 0
	s_lshl_b32 s26, s3, 4
	s_mul_i32 s27, s3, 12
	s_mov_b32 s28, s2
	s_lshl_b32 s29, s3, 3
	s_mov_b32 s30, s2
	v_addc_co_u32_e32 v7, vcc, 0, v7, vcc
	s_mov_b64 s[20:21], 0
	v_pk_mov_b32 v[8:9], s[12:13], s[12:13] op_sel:[0,1]
	v_mov_b32_e32 v16, s2
	s_branch .LBB30_4
.LBB30_3:                               ;   in Loop: Header=BB30_4 Depth=1
	s_or_b64 exec, exec, s[0:1]
	s_add_u32 s20, s20, s25
	s_addc_u32 s21, s21, 0
	v_cmp_lt_i64_e32 vcc, s[20:21], v[8:9]
	v_cmp_lt_u64_e64 s[0:1], s[20:21], v[2:3]
	s_and_b64 s[0:1], vcc, s[0:1]
	v_add_co_u32_e32 v4, vcc, s26, v4
	v_addc_co_u32_e32 v5, vcc, v5, v16, vcc
	v_add_co_u32_e32 v6, vcc, s26, v6
	v_addc_co_u32_e32 v7, vcc, v7, v16, vcc
	s_and_b64 vcc, exec, s[0:1]
	s_cbranch_vccz .LBB30_20
.LBB30_4:                               ; =>This Inner Loop Header: Depth=1
	v_mov_b32_e32 v17, s21
	v_add_co_u32_e32 v18, vcc, s20, v0
	v_addc_co_u32_e32 v19, vcc, 0, v17, vcc
	v_cmp_gt_u64_e32 vcc, s[18:19], v[18:19]
	v_mov_b32_e32 v17, 0
	s_and_saveexec_b64 s[0:1], vcc
	s_cbranch_execz .LBB30_6
; %bb.5:                                ;   in Loop: Header=BB30_4 Depth=1
	global_load_dword v17, v[4:5], off
.LBB30_6:                               ;   in Loop: Header=BB30_4 Depth=1
	s_or_b64 exec, exec, s[0:1]
	v_mov_b32_e32 v19, s21
	v_add_co_u32_e64 v18, s[0:1], s20, v14
	v_addc_co_u32_e64 v19, s[0:1], v15, v19, s[0:1]
	v_cmp_gt_u64_e64 s[0:1], s[18:19], v[18:19]
	v_mov_b32_e32 v18, 0
	v_mov_b32_e32 v19, 0
	s_and_saveexec_b64 s[2:3], s[0:1]
	s_cbranch_execz .LBB30_8
; %bb.7:                                ;   in Loop: Header=BB30_4 Depth=1
	global_load_dword v19, v[6:7], off
.LBB30_8:                               ;   in Loop: Header=BB30_4 Depth=1
	s_or_b64 exec, exec, s[2:3]
	v_mov_b32_e32 v21, s21
	v_add_co_u32_e64 v20, s[2:3], s20, v12
	v_addc_co_u32_e64 v21, s[2:3], v13, v21, s[2:3]
	v_cmp_gt_u64_e64 s[2:3], s[18:19], v[20:21]
	s_and_saveexec_b64 s[8:9], s[2:3]
	s_cbranch_execz .LBB30_10
; %bb.9:                                ;   in Loop: Header=BB30_4 Depth=1
	v_mov_b32_e32 v18, s30
	v_add_co_u32_e64 v20, s[6:7], s29, v4
	v_addc_co_u32_e64 v21, s[6:7], v5, v18, s[6:7]
	global_load_dword v18, v[20:21], off
.LBB30_10:                              ;   in Loop: Header=BB30_4 Depth=1
	s_or_b64 exec, exec, s[8:9]
	v_mov_b32_e32 v21, s21
	v_add_co_u32_e64 v20, s[6:7], s20, v10
	v_addc_co_u32_e64 v21, s[6:7], v11, v21, s[6:7]
	v_cmp_gt_u64_e64 s[6:7], s[18:19], v[20:21]
	v_mov_b32_e32 v20, 0
	s_and_saveexec_b64 s[22:23], s[6:7]
	s_cbranch_execz .LBB30_12
; %bb.11:                               ;   in Loop: Header=BB30_4 Depth=1
	v_mov_b32_e32 v21, s28
	v_add_co_u32_e64 v20, s[8:9], s27, v4
	v_addc_co_u32_e64 v21, s[8:9], v5, v21, s[8:9]
	global_load_dword v20, v[20:21], off
.LBB30_12:                              ;   in Loop: Header=BB30_4 Depth=1
	s_or_b64 exec, exec, s[22:23]
	global_load_dword v21, v1, s[10:11]
	s_waitcnt vmcnt(0)
	v_mul_f32_e32 v21, s24, v21
	s_and_saveexec_b64 s[8:9], vcc
	s_cbranch_execnz .LBB30_16
; %bb.13:                               ;   in Loop: Header=BB30_4 Depth=1
	s_or_b64 exec, exec, s[8:9]
	s_and_saveexec_b64 s[8:9], s[0:1]
	s_cbranch_execnz .LBB30_17
.LBB30_14:                              ;   in Loop: Header=BB30_4 Depth=1
	s_or_b64 exec, exec, s[8:9]
	s_and_saveexec_b64 s[0:1], s[2:3]
	s_cbranch_execnz .LBB30_18
.LBB30_15:                              ;   in Loop: Header=BB30_4 Depth=1
	s_or_b64 exec, exec, s[0:1]
	s_and_saveexec_b64 s[0:1], s[6:7]
	s_cbranch_execz .LBB30_3
	s_branch .LBB30_19
.LBB30_16:                              ;   in Loop: Header=BB30_4 Depth=1
	v_mul_f32_e32 v17, v17, v21
	global_store_dword v[4:5], v17, off
	s_or_b64 exec, exec, s[8:9]
	s_and_saveexec_b64 s[8:9], s[0:1]
	s_cbranch_execz .LBB30_14
.LBB30_17:                              ;   in Loop: Header=BB30_4 Depth=1
	v_mul_f32_e32 v17, v19, v21
	global_store_dword v[6:7], v17, off
	s_or_b64 exec, exec, s[8:9]
	s_and_saveexec_b64 s[0:1], s[2:3]
	s_cbranch_execz .LBB30_15
.LBB30_18:                              ;   in Loop: Header=BB30_4 Depth=1
	v_mul_f32_e32 v17, v18, v21
	v_mov_b32_e32 v19, s30
	v_add_co_u32_e32 v18, vcc, s29, v4
	v_addc_co_u32_e32 v19, vcc, v5, v19, vcc
	global_store_dword v[18:19], v17, off
	s_or_b64 exec, exec, s[0:1]
	s_and_saveexec_b64 s[0:1], s[6:7]
	s_cbranch_execz .LBB30_3
.LBB30_19:                              ;   in Loop: Header=BB30_4 Depth=1
	v_mov_b32_e32 v19, s28
	v_add_co_u32_e32 v18, vcc, s27, v4
	v_mul_f32_e32 v17, v20, v21
	v_addc_co_u32_e32 v19, vcc, v5, v19, vcc
	global_store_dword v[18:19], v17, off
	s_branch .LBB30_3
.LBB30_20:
	s_cbranch_execz .LBB30_22
	s_branch .LBB30_25
.LBB30_21:
.LBB30_22:
	v_mov_b32_e32 v3, 0
	v_lshlrev_b32_e32 v2, 2, v0
	s_mov_b32 s0, 0
	v_cmp_gt_i64_e32 vcc, s[12:13], v[2:3]
	s_and_saveexec_b64 s[2:3], vcc
	s_cbranch_execz .LBB30_25
; %bb.23:
	s_load_dword s1, s[4:5], 0xd4c
	v_lshlrev_b32_e32 v1, 4, v0
	s_mov_b64 s[4:5], 0xffff
	v_mov_b32_e32 v6, s0
	v_mov_b32_e32 v7, s0
	s_waitcnt lgkmcnt(0)
	s_and_b32 s1, s1, 0xffff
	s_add_u32 s2, s14, s16
	s_addc_u32 s3, s15, s17
	v_mov_b32_e32 v2, s3
	v_add_co_u32_e32 v1, vcc, s2, v1
	v_addc_co_u32_e32 v2, vcc, 0, v2, vcc
	v_add_co_u32_e32 v4, vcc, 8, v1
	v_addc_co_u32_e32 v5, vcc, 0, v2, vcc
	v_add_lshl_u32 v2, v0, s1, 2
	s_lshl_b32 s6, s1, 4
	s_lshl_b32 s7, s1, 2
	s_mov_b64 s[2:3], 0
	v_pk_mov_b32 v[0:1], v[2:3], v[2:3] op_sel:[0,1]
.LBB30_24:                              ; =>This Inner Loop Header: Depth=1
	global_load_dword v2, v3, s[10:11]
	global_load_dwordx4 v[8:11], v[4:5], off offset:-8
	v_cmp_le_i64_e32 vcc, s[12:13], v[0:1]
	v_cmp_lt_u64_e64 s[0:1], s[4:5], v[0:1]
	s_or_b64 s[0:1], vcc, s[0:1]
	s_and_b64 s[0:1], exec, s[0:1]
	s_or_b64 s[2:3], s[0:1], s[2:3]
	s_waitcnt vmcnt(1)
	v_mul_f32_e32 v2, s24, v2
	s_waitcnt vmcnt(0)
	v_pk_mul_f32 v[8:9], v[8:9], v[2:3] op_sel_hi:[1,0]
	v_pk_mul_f32 v[10:11], v[10:11], v[2:3] op_sel_hi:[1,0]
	global_store_dwordx4 v[4:5], v[8:11], off offset:-8
	v_add_co_u32_e32 v4, vcc, s6, v4
	v_addc_co_u32_e32 v5, vcc, v5, v6, vcc
	v_add_co_u32_e32 v0, vcc, s7, v0
	v_addc_co_u32_e32 v1, vcc, v1, v7, vcc
	s_andn2_b64 exec, exec, s[2:3]
	s_cbranch_execnz .LBB30_24
.LBB30_25:
	s_endpgm
	.section	.rodata,"a",@progbits
	.p2align	6, 0x0
	.amdhsa_kernel _ZN2at6native12_GLOBAL__N_125multi_tensor_apply_kernelINS1_18TensorListMetadataILi1EEENS1_27BinaryOpScalarTensorFunctorIfLi1ELi1ELi0EEEJSt10multipliesIfEPffEEEvT_T0_DpT1_
		.amdhsa_group_segment_fixed_size 0
		.amdhsa_private_segment_fixed_size 0
		.amdhsa_kernarg_size 3648
		.amdhsa_user_sgpr_count 6
		.amdhsa_user_sgpr_private_segment_buffer 1
		.amdhsa_user_sgpr_dispatch_ptr 0
		.amdhsa_user_sgpr_queue_ptr 0
		.amdhsa_user_sgpr_kernarg_segment_ptr 1
		.amdhsa_user_sgpr_dispatch_id 0
		.amdhsa_user_sgpr_flat_scratch_init 0
		.amdhsa_user_sgpr_kernarg_preload_length 0
		.amdhsa_user_sgpr_kernarg_preload_offset 0
		.amdhsa_user_sgpr_private_segment_size 0
		.amdhsa_uses_dynamic_stack 0
		.amdhsa_system_sgpr_private_segment_wavefront_offset 0
		.amdhsa_system_sgpr_workgroup_id_x 1
		.amdhsa_system_sgpr_workgroup_id_y 0
		.amdhsa_system_sgpr_workgroup_id_z 0
		.amdhsa_system_sgpr_workgroup_info 0
		.amdhsa_system_vgpr_workitem_id 0
		.amdhsa_next_free_vgpr 22
		.amdhsa_next_free_sgpr 31
		.amdhsa_accum_offset 24
		.amdhsa_reserve_vcc 1
		.amdhsa_reserve_flat_scratch 0
		.amdhsa_float_round_mode_32 0
		.amdhsa_float_round_mode_16_64 0
		.amdhsa_float_denorm_mode_32 3
		.amdhsa_float_denorm_mode_16_64 3
		.amdhsa_dx10_clamp 1
		.amdhsa_ieee_mode 1
		.amdhsa_fp16_overflow 0
		.amdhsa_tg_split 0
		.amdhsa_exception_fp_ieee_invalid_op 0
		.amdhsa_exception_fp_denorm_src 0
		.amdhsa_exception_fp_ieee_div_zero 0
		.amdhsa_exception_fp_ieee_overflow 0
		.amdhsa_exception_fp_ieee_underflow 0
		.amdhsa_exception_fp_ieee_inexact 0
		.amdhsa_exception_int_div_zero 0
	.end_amdhsa_kernel
	.section	.text._ZN2at6native12_GLOBAL__N_125multi_tensor_apply_kernelINS1_18TensorListMetadataILi1EEENS1_27BinaryOpScalarTensorFunctorIfLi1ELi1ELi0EEEJSt10multipliesIfEPffEEEvT_T0_DpT1_,"axG",@progbits,_ZN2at6native12_GLOBAL__N_125multi_tensor_apply_kernelINS1_18TensorListMetadataILi1EEENS1_27BinaryOpScalarTensorFunctorIfLi1ELi1ELi0EEEJSt10multipliesIfEPffEEEvT_T0_DpT1_,comdat
.Lfunc_end30:
	.size	_ZN2at6native12_GLOBAL__N_125multi_tensor_apply_kernelINS1_18TensorListMetadataILi1EEENS1_27BinaryOpScalarTensorFunctorIfLi1ELi1ELi0EEEJSt10multipliesIfEPffEEEvT_T0_DpT1_, .Lfunc_end30-_ZN2at6native12_GLOBAL__N_125multi_tensor_apply_kernelINS1_18TensorListMetadataILi1EEENS1_27BinaryOpScalarTensorFunctorIfLi1ELi1ELi0EEEJSt10multipliesIfEPffEEEvT_T0_DpT1_
                                        ; -- End function
	.section	.AMDGPU.csdata,"",@progbits
; Kernel info:
; codeLenInByte = 1040
; NumSgprs: 35
; NumVgprs: 22
; NumAgprs: 0
; TotalNumVgprs: 22
; ScratchSize: 0
; MemoryBound: 0
; FloatMode: 240
; IeeeMode: 1
; LDSByteSize: 0 bytes/workgroup (compile time only)
; SGPRBlocks: 4
; VGPRBlocks: 2
; NumSGPRsForWavesPerEU: 35
; NumVGPRsForWavesPerEU: 22
; AccumOffset: 24
; Occupancy: 8
; WaveLimiterHint : 0
; COMPUTE_PGM_RSRC2:SCRATCH_EN: 0
; COMPUTE_PGM_RSRC2:USER_SGPR: 6
; COMPUTE_PGM_RSRC2:TRAP_HANDLER: 0
; COMPUTE_PGM_RSRC2:TGID_X_EN: 1
; COMPUTE_PGM_RSRC2:TGID_Y_EN: 0
; COMPUTE_PGM_RSRC2:TGID_Z_EN: 0
; COMPUTE_PGM_RSRC2:TIDIG_COMP_CNT: 0
; COMPUTE_PGM_RSRC3_GFX90A:ACCUM_OFFSET: 5
; COMPUTE_PGM_RSRC3_GFX90A:TG_SPLIT: 0
	.section	.text._ZN2at6native12_GLOBAL__N_125multi_tensor_apply_kernelINS1_18TensorListMetadataILi1EEENS1_27BinaryOpScalarTensorFunctorIN3c107complexIdEELi1ELi1ELi0EEEJSt10multipliesIS8_EPS8_S8_EEEvT_T0_DpT1_,"axG",@progbits,_ZN2at6native12_GLOBAL__N_125multi_tensor_apply_kernelINS1_18TensorListMetadataILi1EEENS1_27BinaryOpScalarTensorFunctorIN3c107complexIdEELi1ELi1ELi0EEEJSt10multipliesIS8_EPS8_S8_EEEvT_T0_DpT1_,comdat
	.globl	_ZN2at6native12_GLOBAL__N_125multi_tensor_apply_kernelINS1_18TensorListMetadataILi1EEENS1_27BinaryOpScalarTensorFunctorIN3c107complexIdEELi1ELi1ELi0EEEJSt10multipliesIS8_EPS8_S8_EEEvT_T0_DpT1_ ; -- Begin function _ZN2at6native12_GLOBAL__N_125multi_tensor_apply_kernelINS1_18TensorListMetadataILi1EEENS1_27BinaryOpScalarTensorFunctorIN3c107complexIdEELi1ELi1ELi0EEEJSt10multipliesIS8_EPS8_S8_EEEvT_T0_DpT1_
	.p2align	8
	.type	_ZN2at6native12_GLOBAL__N_125multi_tensor_apply_kernelINS1_18TensorListMetadataILi1EEENS1_27BinaryOpScalarTensorFunctorIN3c107complexIdEELi1ELi1ELi0EEEJSt10multipliesIS8_EPS8_S8_EEEvT_T0_DpT1_,@function
_ZN2at6native12_GLOBAL__N_125multi_tensor_apply_kernelINS1_18TensorListMetadataILi1EEENS1_27BinaryOpScalarTensorFunctorIN3c107complexIdEELi1ELi1ELi0EEEJSt10multipliesIS8_EPS8_S8_EEEvT_T0_DpT1_: ; @_ZN2at6native12_GLOBAL__N_125multi_tensor_apply_kernelINS1_18TensorListMetadataILi1EEENS1_27BinaryOpScalarTensorFunctorIN3c107complexIdEELi1ELi1ELi0EEEJSt10multipliesIS8_EPS8_S8_EEEvT_T0_DpT1_
; %bb.0:
	v_mov_b32_e32 v1, s6
	global_load_ubyte v1, v1, s[4:5] offset:1760
	s_add_u32 s0, s4, s6
	s_mul_hi_u32 s1, s6, 3
	s_mul_i32 s6, s6, 3
	s_addc_u32 s2, s5, 0
	s_add_u32 s0, s0, s6
	s_addc_u32 s1, s2, s1
	s_load_dword s0, s[0:1], 0x820
	s_mov_b32 s7, 0
	s_load_dwordx4 s[12:15], s[4:5], 0xd40
	s_waitcnt vmcnt(0)
	v_readfirstlane_b32 s1, v1
	s_lshl_b32 s1, s1, 3
	s_load_dwordx2 s[18:19], s[4:5], s1 offset:0x0
	s_load_dwordx2 s[10:11], s[4:5], 0xd30
	s_load_dwordx2 s[2:3], s[4:5], s1 offset:0x370
	s_waitcnt lgkmcnt(0)
	s_ashr_i32 s1, s0, 31
	s_lshl_b64 s[20:21], s[0:1], 20
	s_add_u32 s28, s18, s20
	s_addc_u32 s29, s19, s21
	s_lshl_b64 s[0:1], s[0:1], 16
	s_and_b32 s6, s28, 63
	s_sub_u32 s16, s2, s0
	s_subb_u32 s17, s3, s1
	s_and_b32 s0, s2, 3
	s_mov_b32 s1, s7
	s_or_b64 s[0:1], s[6:7], s[0:1]
	s_cmp_eq_u64 s[0:1], 0
	s_cbranch_scc1 .LBB31_21
; %bb.1:
	v_cmp_lt_i64_e64 s[0:1], s[16:17], 1
	s_and_b64 vcc, exec, s[0:1]
	s_cbranch_vccnz .LBB31_20
; %bb.2:
	s_load_dword s0, s[4:5], 0xd5c
	v_mov_b32_e32 v2, 0x10000
	v_mov_b32_e32 v3, 0
	v_cmp_lt_u64_e32 vcc, s[16:17], v[2:3]
	v_mov_b32_e32 v19, 0
	s_waitcnt lgkmcnt(0)
	s_and_b32 s2, s0, 0xffff
	s_and_b64 s[0:1], vcc, exec
	s_mul_i32 s6, s2, 3
	v_add_co_u32_e32 v23, vcc, s2, v0
	v_lshlrev_b32_e32 v18, 4, v0
	v_addc_co_u32_e64 v25, s[0:1], 0, 0, vcc
	v_add_co_u32_e32 v30, vcc, s6, v0
	v_mad_u64_u32 v[20:21], s[0:1], s2, 48, v[18:19]
	v_addc_co_u32_e64 v31, s[0:1], 0, 0, vcc
	s_cselect_b32 s23, s17, 0
	s_cselect_b32 s22, s16, 0x10000
	s_lshl_b32 s0, s2, 5
	s_lshl_b32 s3, s2, 1
	v_add_co_u32_e32 v2, vcc, s0, v18
	v_addc_co_u32_e64 v1, s[0:1], 0, 0, vcc
	v_add_co_u32_e32 v32, vcc, s3, v0
	s_lshl_b32 s30, s2, 2
	s_lshl_b32 s31, s2, 6
	v_or_b32_e32 v20, 8, v20
	v_lshlrev_b32_e32 v22, 4, v23
	v_or_b32_e32 v24, 8, v2
	v_addc_co_u32_e64 v33, s[0:1], 0, 0, vcc
	s_mov_b64 s[24:25], 0
	s_branch .LBB31_4
.LBB31_3:                               ;   in Loop: Header=BB31_4 Depth=1
	s_or_b64 exec, exec, s[0:1]
	s_add_u32 s24, s24, s30
	s_addc_u32 s25, s25, 0
	v_pk_mov_b32 v[2:3], s[16:17], s[16:17] op_sel:[0,1]
	v_cmp_lt_i64_e32 vcc, s[24:25], v[2:3]
	v_mov_b32_e32 v2, 0x10000
	v_mov_b32_e32 v3, 0
	v_cmp_lt_u64_e64 s[0:1], s[24:25], v[2:3]
	s_and_b64 s[0:1], vcc, s[0:1]
	s_add_u32 s28, s28, s31
	s_addc_u32 s29, s29, 0
	s_and_b64 vcc, exec, s[0:1]
	s_cbranch_vccz .LBB31_20
.LBB31_4:                               ; =>This Inner Loop Header: Depth=1
	v_mov_b32_e32 v3, s25
	v_add_co_u32_e32 v2, vcc, s24, v0
	v_addc_co_u32_e32 v3, vcc, 0, v3, vcc
	v_pk_mov_b32 v[4:5], 0, 0
	v_cmp_gt_u64_e32 vcc, s[22:23], v[2:3]
	v_pk_mov_b32 v[12:13], v[4:5], v[4:5] op_sel:[0,1]
	v_pk_mov_b32 v[10:11], v[4:5], v[4:5] op_sel:[0,1]
	s_and_saveexec_b64 s[2:3], vcc
	s_cbranch_execz .LBB31_6
; %bb.5:                                ;   in Loop: Header=BB31_4 Depth=1
	v_mov_b32_e32 v3, s29
	v_add_co_u32_e64 v2, s[0:1], s28, v18
	v_addc_co_u32_e64 v3, s[0:1], 0, v3, s[0:1]
	global_load_dwordx4 v[10:13], v[2:3], off
.LBB31_6:                               ;   in Loop: Header=BB31_4 Depth=1
	s_or_b64 exec, exec, s[2:3]
	v_mov_b32_e32 v3, s25
	v_add_co_u32_e64 v2, s[0:1], s24, v23
	v_addc_co_u32_e64 v3, s[0:1], v25, v3, s[0:1]
	v_cmp_gt_u64_e64 s[0:1], s[22:23], v[2:3]
	v_pk_mov_b32 v[2:3], v[4:5], v[4:5] op_sel:[0,1]
	s_and_saveexec_b64 s[6:7], s[0:1]
	s_cbranch_execz .LBB31_8
; %bb.7:                                ;   in Loop: Header=BB31_4 Depth=1
	v_mov_b32_e32 v3, s29
	v_add_co_u32_e64 v2, s[2:3], s28, v22
	v_addc_co_u32_e64 v3, s[2:3], 0, v3, s[2:3]
	global_load_dwordx4 v[2:5], v[2:3], off
.LBB31_8:                               ;   in Loop: Header=BB31_4 Depth=1
	s_or_b64 exec, exec, s[6:7]
	v_mov_b32_e32 v7, s25
	v_add_co_u32_e64 v6, s[2:3], s24, v32
	v_addc_co_u32_e64 v7, s[2:3], v33, v7, s[2:3]
	v_pk_mov_b32 v[8:9], 0, 0
	v_cmp_gt_u64_e64 s[2:3], s[22:23], v[6:7]
	v_pk_mov_b32 v[16:17], v[8:9], v[8:9] op_sel:[0,1]
	v_pk_mov_b32 v[14:15], v[8:9], v[8:9] op_sel:[0,1]
	s_and_saveexec_b64 s[8:9], s[2:3]
	s_cbranch_execz .LBB31_10
; %bb.9:                                ;   in Loop: Header=BB31_4 Depth=1
	v_mov_b32_e32 v7, s29
	v_add_co_u32_e64 v6, s[6:7], s28, v24
	v_addc_co_u32_e64 v7, s[6:7], v7, v1, s[6:7]
	global_load_dwordx4 v[14:17], v[6:7], off offset:-8
.LBB31_10:                              ;   in Loop: Header=BB31_4 Depth=1
	s_or_b64 exec, exec, s[8:9]
	v_mov_b32_e32 v7, s25
	v_add_co_u32_e64 v6, s[6:7], s24, v30
	v_addc_co_u32_e64 v7, s[6:7], v31, v7, s[6:7]
	v_cmp_gt_u64_e64 s[6:7], s[22:23], v[6:7]
	v_pk_mov_b32 v[6:7], v[8:9], v[8:9] op_sel:[0,1]
	s_and_saveexec_b64 s[26:27], s[6:7]
	s_cbranch_execz .LBB31_12
; %bb.11:                               ;   in Loop: Header=BB31_4 Depth=1
	v_mov_b32_e32 v7, s29
	v_add_co_u32_e64 v6, s[8:9], s28, v20
	v_addc_co_u32_e64 v7, s[8:9], v7, v21, s[8:9]
	global_load_dwordx4 v[6:9], v[6:7], off offset:-8
.LBB31_12:                              ;   in Loop: Header=BB31_4 Depth=1
	s_or_b64 exec, exec, s[26:27]
	global_load_dwordx4 v[34:37], v19, s[10:11]
	s_waitcnt vmcnt(0)
	v_mul_f64 v[26:27], s[14:15], v[36:37]
	v_mul_f64 v[28:29], s[12:13], v[36:37]
	v_fma_f64 v[26:27], s[12:13], v[34:35], -v[26:27]
	v_fmac_f64_e32 v[28:29], s[14:15], v[34:35]
	s_and_saveexec_b64 s[8:9], vcc
	s_cbranch_execnz .LBB31_16
; %bb.13:                               ;   in Loop: Header=BB31_4 Depth=1
	s_or_b64 exec, exec, s[8:9]
	s_and_saveexec_b64 s[8:9], s[0:1]
	s_cbranch_execnz .LBB31_17
.LBB31_14:                              ;   in Loop: Header=BB31_4 Depth=1
	s_or_b64 exec, exec, s[8:9]
	s_and_saveexec_b64 s[0:1], s[2:3]
	s_cbranch_execnz .LBB31_18
.LBB31_15:                              ;   in Loop: Header=BB31_4 Depth=1
	s_or_b64 exec, exec, s[0:1]
	s_and_saveexec_b64 s[0:1], s[6:7]
	s_cbranch_execz .LBB31_3
	s_branch .LBB31_19
.LBB31_16:                              ;   in Loop: Header=BB31_4 Depth=1
	v_mov_b32_e32 v34, s29
	v_add_co_u32_e32 v38, vcc, s28, v18
	v_addc_co_u32_e32 v39, vcc, 0, v34, vcc
	v_mul_f64 v[34:35], v[12:13], v[28:29]
	v_mul_f64 v[36:37], v[10:11], v[28:29]
	v_fma_f64 v[34:35], v[10:11], v[26:27], -v[34:35]
	v_fmac_f64_e32 v[36:37], v[12:13], v[26:27]
	global_store_dwordx4 v[38:39], v[34:37], off
	s_or_b64 exec, exec, s[8:9]
	s_and_saveexec_b64 s[8:9], s[0:1]
	s_cbranch_execz .LBB31_14
.LBB31_17:                              ;   in Loop: Header=BB31_4 Depth=1
	v_mul_f64 v[10:11], v[4:5], v[28:29]
	v_fma_f64 v[10:11], v[2:3], v[26:27], -v[10:11]
	v_mul_f64 v[12:13], v[2:3], v[28:29]
	v_mov_b32_e32 v3, s29
	v_add_co_u32_e32 v2, vcc, s28, v22
	v_fmac_f64_e32 v[12:13], v[4:5], v[26:27]
	v_addc_co_u32_e32 v3, vcc, 0, v3, vcc
	global_store_dwordx4 v[2:3], v[10:13], off
	s_or_b64 exec, exec, s[8:9]
	s_and_saveexec_b64 s[0:1], s[2:3]
	s_cbranch_execz .LBB31_15
.LBB31_18:                              ;   in Loop: Header=BB31_4 Depth=1
	v_mul_f64 v[2:3], v[16:17], v[28:29]
	v_mul_f64 v[4:5], v[14:15], v[28:29]
	v_mov_b32_e32 v11, s29
	v_add_co_u32_e32 v10, vcc, s28, v24
	v_fma_f64 v[2:3], v[14:15], v[26:27], -v[2:3]
	v_fmac_f64_e32 v[4:5], v[16:17], v[26:27]
	v_addc_co_u32_e32 v11, vcc, v11, v1, vcc
	global_store_dwordx4 v[10:11], v[2:5], off offset:-8
	s_or_b64 exec, exec, s[0:1]
	s_and_saveexec_b64 s[0:1], s[6:7]
	s_cbranch_execz .LBB31_3
.LBB31_19:                              ;   in Loop: Header=BB31_4 Depth=1
	v_mul_f64 v[2:3], v[8:9], v[28:29]
	v_fma_f64 v[2:3], v[6:7], v[26:27], -v[2:3]
	v_mul_f64 v[4:5], v[6:7], v[28:29]
	v_mov_b32_e32 v7, s29
	v_add_co_u32_e32 v6, vcc, s28, v20
	v_fmac_f64_e32 v[4:5], v[8:9], v[26:27]
	v_addc_co_u32_e32 v7, vcc, v7, v21, vcc
	global_store_dwordx4 v[6:7], v[2:5], off offset:-8
	s_branch .LBB31_3
.LBB31_20:
	s_cbranch_execz .LBB31_22
	s_branch .LBB31_25
.LBB31_21:
.LBB31_22:
	v_mov_b32_e32 v3, 0
	v_lshlrev_b32_e32 v2, 2, v0
	s_mov_b32 s0, 0
	v_cmp_gt_i64_e32 vcc, s[16:17], v[2:3]
	s_and_saveexec_b64 s[2:3], vcc
	s_cbranch_execz .LBB31_25
; %bb.23:
	s_load_dword s1, s[4:5], 0xd5c
	v_lshlrev_b32_e32 v1, 6, v0
	s_mov_b64 s[4:5], 0
	s_mov_b64 s[6:7], 0xffff
	v_mov_b32_e32 v6, s0
	s_waitcnt lgkmcnt(0)
	s_and_b32 s1, s1, 0xffff
	s_lshl_b32 s8, s1, 2
	s_add_u32 s2, s18, s20
	s_addc_u32 s3, s19, s21
	v_add_lshl_u32 v2, v0, s1, 2
	v_mov_b32_e32 v4, s3
	v_add_co_u32_e32 v0, vcc, s2, v1
	v_addc_co_u32_e32 v1, vcc, 0, v4, vcc
	s_lshl_b32 s9, s1, 6
	v_mov_b32_e32 v7, s0
	v_pk_mov_b32 v[4:5], v[2:3], v[2:3] op_sel:[0,1]
.LBB31_24:                              ; =>This Inner Loop Header: Depth=1
	global_load_dwordx4 v[8:11], v3, s[10:11]
	global_load_dwordx4 v[12:15], v[0:1], off
	global_load_dwordx4 v[16:19], v[0:1], off offset:16
	global_load_dwordx4 v[20:23], v[0:1], off offset:32
	;; [unrolled: 1-line block ×3, first 2 shown]
	v_cmp_le_i64_e32 vcc, s[16:17], v[4:5]
	v_cmp_lt_u64_e64 s[0:1], s[6:7], v[4:5]
	s_or_b64 s[0:1], vcc, s[0:1]
	v_add_co_u32_e64 v4, s[2:3], s8, v4
	s_and_b64 s[0:1], exec, s[0:1]
	v_addc_co_u32_e64 v5, s[2:3], v5, v6, s[2:3]
	s_or_b64 s[4:5], s[0:1], s[4:5]
	s_waitcnt vmcnt(4)
	v_mul_f64 v[32:33], s[12:13], v[10:11]
	v_mul_f64 v[28:29], s[14:15], v[10:11]
	v_fmac_f64_e32 v[32:33], s[14:15], v[8:9]
	v_fma_f64 v[40:41], s[12:13], v[8:9], -v[28:29]
	s_waitcnt vmcnt(3)
	v_mul_f64 v[8:9], v[14:15], v[32:33]
	v_mul_f64 v[10:11], v[12:13], v[32:33]
	s_waitcnt vmcnt(2)
	v_mul_f64 v[28:29], v[18:19], v[32:33]
	v_mul_f64 v[30:31], v[16:17], v[32:33]
	;; [unrolled: 3-line block ×4, first 2 shown]
	v_fma_f64 v[8:9], v[12:13], v[40:41], -v[8:9]
	v_fmac_f64_e32 v[10:11], v[14:15], v[40:41]
	v_fma_f64 v[28:29], v[16:17], v[40:41], -v[28:29]
	v_fmac_f64_e32 v[30:31], v[18:19], v[40:41]
	;; [unrolled: 2-line block ×4, first 2 shown]
	global_store_dwordx4 v[0:1], v[8:11], off
	global_store_dwordx4 v[0:1], v[28:31], off offset:16
	global_store_dwordx4 v[0:1], v[32:35], off offset:32
	;; [unrolled: 1-line block ×3, first 2 shown]
	v_add_co_u32_e32 v0, vcc, s9, v0
	v_addc_co_u32_e32 v1, vcc, v1, v7, vcc
	s_andn2_b64 exec, exec, s[4:5]
	s_cbranch_execnz .LBB31_24
.LBB31_25:
	s_endpgm
	.section	.rodata,"a",@progbits
	.p2align	6, 0x0
	.amdhsa_kernel _ZN2at6native12_GLOBAL__N_125multi_tensor_apply_kernelINS1_18TensorListMetadataILi1EEENS1_27BinaryOpScalarTensorFunctorIN3c107complexIdEELi1ELi1ELi0EEEJSt10multipliesIS8_EPS8_S8_EEEvT_T0_DpT1_
		.amdhsa_group_segment_fixed_size 0
		.amdhsa_private_segment_fixed_size 0
		.amdhsa_kernarg_size 3664
		.amdhsa_user_sgpr_count 6
		.amdhsa_user_sgpr_private_segment_buffer 1
		.amdhsa_user_sgpr_dispatch_ptr 0
		.amdhsa_user_sgpr_queue_ptr 0
		.amdhsa_user_sgpr_kernarg_segment_ptr 1
		.amdhsa_user_sgpr_dispatch_id 0
		.amdhsa_user_sgpr_flat_scratch_init 0
		.amdhsa_user_sgpr_kernarg_preload_length 0
		.amdhsa_user_sgpr_kernarg_preload_offset 0
		.amdhsa_user_sgpr_private_segment_size 0
		.amdhsa_uses_dynamic_stack 0
		.amdhsa_system_sgpr_private_segment_wavefront_offset 0
		.amdhsa_system_sgpr_workgroup_id_x 1
		.amdhsa_system_sgpr_workgroup_id_y 0
		.amdhsa_system_sgpr_workgroup_id_z 0
		.amdhsa_system_sgpr_workgroup_info 0
		.amdhsa_system_vgpr_workitem_id 0
		.amdhsa_next_free_vgpr 44
		.amdhsa_next_free_sgpr 32
		.amdhsa_accum_offset 44
		.amdhsa_reserve_vcc 1
		.amdhsa_reserve_flat_scratch 0
		.amdhsa_float_round_mode_32 0
		.amdhsa_float_round_mode_16_64 0
		.amdhsa_float_denorm_mode_32 3
		.amdhsa_float_denorm_mode_16_64 3
		.amdhsa_dx10_clamp 1
		.amdhsa_ieee_mode 1
		.amdhsa_fp16_overflow 0
		.amdhsa_tg_split 0
		.amdhsa_exception_fp_ieee_invalid_op 0
		.amdhsa_exception_fp_denorm_src 0
		.amdhsa_exception_fp_ieee_div_zero 0
		.amdhsa_exception_fp_ieee_overflow 0
		.amdhsa_exception_fp_ieee_underflow 0
		.amdhsa_exception_fp_ieee_inexact 0
		.amdhsa_exception_int_div_zero 0
	.end_amdhsa_kernel
	.section	.text._ZN2at6native12_GLOBAL__N_125multi_tensor_apply_kernelINS1_18TensorListMetadataILi1EEENS1_27BinaryOpScalarTensorFunctorIN3c107complexIdEELi1ELi1ELi0EEEJSt10multipliesIS8_EPS8_S8_EEEvT_T0_DpT1_,"axG",@progbits,_ZN2at6native12_GLOBAL__N_125multi_tensor_apply_kernelINS1_18TensorListMetadataILi1EEENS1_27BinaryOpScalarTensorFunctorIN3c107complexIdEELi1ELi1ELi0EEEJSt10multipliesIS8_EPS8_S8_EEEvT_T0_DpT1_,comdat
.Lfunc_end31:
	.size	_ZN2at6native12_GLOBAL__N_125multi_tensor_apply_kernelINS1_18TensorListMetadataILi1EEENS1_27BinaryOpScalarTensorFunctorIN3c107complexIdEELi1ELi1ELi0EEEJSt10multipliesIS8_EPS8_S8_EEEvT_T0_DpT1_, .Lfunc_end31-_ZN2at6native12_GLOBAL__N_125multi_tensor_apply_kernelINS1_18TensorListMetadataILi1EEENS1_27BinaryOpScalarTensorFunctorIN3c107complexIdEELi1ELi1ELi0EEEJSt10multipliesIS8_EPS8_S8_EEEvT_T0_DpT1_
                                        ; -- End function
	.section	.AMDGPU.csdata,"",@progbits
; Kernel info:
; codeLenInByte = 1440
; NumSgprs: 36
; NumVgprs: 44
; NumAgprs: 0
; TotalNumVgprs: 44
; ScratchSize: 0
; MemoryBound: 1
; FloatMode: 240
; IeeeMode: 1
; LDSByteSize: 0 bytes/workgroup (compile time only)
; SGPRBlocks: 4
; VGPRBlocks: 5
; NumSGPRsForWavesPerEU: 36
; NumVGPRsForWavesPerEU: 44
; AccumOffset: 44
; Occupancy: 8
; WaveLimiterHint : 0
; COMPUTE_PGM_RSRC2:SCRATCH_EN: 0
; COMPUTE_PGM_RSRC2:USER_SGPR: 6
; COMPUTE_PGM_RSRC2:TRAP_HANDLER: 0
; COMPUTE_PGM_RSRC2:TGID_X_EN: 1
; COMPUTE_PGM_RSRC2:TGID_Y_EN: 0
; COMPUTE_PGM_RSRC2:TGID_Z_EN: 0
; COMPUTE_PGM_RSRC2:TIDIG_COMP_CNT: 0
; COMPUTE_PGM_RSRC3_GFX90A:ACCUM_OFFSET: 10
; COMPUTE_PGM_RSRC3_GFX90A:TG_SPLIT: 0
	.section	.text._ZN2at6native12_GLOBAL__N_125multi_tensor_apply_kernelINS1_18TensorListMetadataILi1EEENS1_27BinaryOpScalarTensorFunctorIN3c107complexIfEELi1ELi1ELi0EEEJSt10multipliesIS8_EPS8_S8_EEEvT_T0_DpT1_,"axG",@progbits,_ZN2at6native12_GLOBAL__N_125multi_tensor_apply_kernelINS1_18TensorListMetadataILi1EEENS1_27BinaryOpScalarTensorFunctorIN3c107complexIfEELi1ELi1ELi0EEEJSt10multipliesIS8_EPS8_S8_EEEvT_T0_DpT1_,comdat
	.globl	_ZN2at6native12_GLOBAL__N_125multi_tensor_apply_kernelINS1_18TensorListMetadataILi1EEENS1_27BinaryOpScalarTensorFunctorIN3c107complexIfEELi1ELi1ELi0EEEJSt10multipliesIS8_EPS8_S8_EEEvT_T0_DpT1_ ; -- Begin function _ZN2at6native12_GLOBAL__N_125multi_tensor_apply_kernelINS1_18TensorListMetadataILi1EEENS1_27BinaryOpScalarTensorFunctorIN3c107complexIfEELi1ELi1ELi0EEEJSt10multipliesIS8_EPS8_S8_EEEvT_T0_DpT1_
	.p2align	8
	.type	_ZN2at6native12_GLOBAL__N_125multi_tensor_apply_kernelINS1_18TensorListMetadataILi1EEENS1_27BinaryOpScalarTensorFunctorIN3c107complexIfEELi1ELi1ELi0EEEJSt10multipliesIS8_EPS8_S8_EEEvT_T0_DpT1_,@function
_ZN2at6native12_GLOBAL__N_125multi_tensor_apply_kernelINS1_18TensorListMetadataILi1EEENS1_27BinaryOpScalarTensorFunctorIN3c107complexIfEELi1ELi1ELi0EEEJSt10multipliesIS8_EPS8_S8_EEEvT_T0_DpT1_: ; @_ZN2at6native12_GLOBAL__N_125multi_tensor_apply_kernelINS1_18TensorListMetadataILi1EEENS1_27BinaryOpScalarTensorFunctorIN3c107complexIfEELi1ELi1ELi0EEEJSt10multipliesIS8_EPS8_S8_EEEvT_T0_DpT1_
; %bb.0:
	v_mov_b32_e32 v1, s6
	global_load_ubyte v1, v1, s[4:5] offset:1760
	s_add_u32 s0, s4, s6
	s_mul_hi_u32 s1, s6, 3
	s_mul_i32 s6, s6, 3
	s_addc_u32 s2, s5, 0
	s_add_u32 s0, s0, s6
	s_addc_u32 s1, s2, s1
	s_load_dword s0, s[0:1], 0x820
	s_mov_b32 s7, 0
	s_load_dwordx4 s[12:15], s[4:5], 0xd30
	s_waitcnt vmcnt(0)
	v_readfirstlane_b32 s1, v1
	s_lshl_b32 s1, s1, 3
	s_load_dwordx2 s[16:17], s[4:5], s1 offset:0x0
	s_load_dwordx2 s[2:3], s[4:5], s1 offset:0x370
	s_waitcnt lgkmcnt(0)
	s_ashr_i32 s1, s0, 31
	s_lshl_b64 s[18:19], s[0:1], 19
	s_add_u32 s26, s16, s18
	s_addc_u32 s27, s17, s19
	s_lshl_b64 s[0:1], s[0:1], 16
	s_and_b32 s6, s26, 31
	s_sub_u32 s10, s2, s0
	s_subb_u32 s11, s3, s1
	s_and_b32 s0, s2, 3
	s_mov_b32 s1, s7
	s_or_b64 s[0:1], s[6:7], s[0:1]
	s_cmp_eq_u64 s[0:1], 0
	s_cbranch_scc1 .LBB32_21
; %bb.1:
	v_cmp_lt_i64_e64 s[0:1], s[10:11], 1
	s_and_b64 vcc, exec, s[0:1]
	s_cbranch_vccnz .LBB32_20
; %bb.2:
	s_load_dword s0, s[4:5], 0xd4c
	v_mov_b32_e32 v4, 0x10000
	v_mov_b32_e32 v5, 0
	v_cmp_lt_u64_e32 vcc, s[10:11], v[4:5]
	v_mov_b32_e32 v3, 0
	s_waitcnt lgkmcnt(0)
	s_and_b32 s2, s0, 0xffff
	s_mul_i32 s6, s2, 3
	s_and_b64 s[0:1], vcc, exec
	v_lshlrev_b32_e32 v2, 3, v0
	v_add_co_u32_e32 v1, vcc, s6, v0
	v_mad_u64_u32 v[4:5], s[0:1], s2, 24, v[2:3]
	v_addc_co_u32_e64 v7, s[0:1], 0, 0, vcc
	s_cselect_b32 s21, s11, 0
	s_cselect_b32 s20, s10, 0x10000
	s_lshl_b32 s0, s2, 4
	s_lshl_b32 s3, s2, 1
	v_add_co_u32_e32 v16, vcc, s0, v2
	v_addc_co_u32_e64 v17, s[0:1], 0, 0, vcc
	v_add_co_u32_e32 v18, vcc, s3, v0
	v_addc_co_u32_e64 v19, s[0:1], 0, 0, vcc
	v_add_co_u32_e32 v20, vcc, s2, v0
	s_lshl_b32 s28, s2, 2
	s_lshl_b32 s29, s2, 5
	v_addc_co_u32_e64 v21, s[0:1], 0, 0, vcc
	v_lshlrev_b32_e32 v6, 3, v20
	s_mov_b64 s[22:23], 0
	s_branch .LBB32_4
.LBB32_3:                               ;   in Loop: Header=BB32_4 Depth=1
	s_or_b64 exec, exec, s[0:1]
	s_add_u32 s22, s22, s28
	s_addc_u32 s23, s23, 0
	v_pk_mov_b32 v[8:9], s[10:11], s[10:11] op_sel:[0,1]
	v_cmp_lt_i64_e32 vcc, s[22:23], v[8:9]
	v_mov_b32_e32 v8, 0x10000
	v_mov_b32_e32 v9, 0
	v_cmp_lt_u64_e64 s[0:1], s[22:23], v[8:9]
	s_and_b64 s[0:1], vcc, s[0:1]
	s_add_u32 s26, s26, s29
	s_addc_u32 s27, s27, 0
	s_and_b64 vcc, exec, s[0:1]
	s_cbranch_vccz .LBB32_20
.LBB32_4:                               ; =>This Inner Loop Header: Depth=1
	v_mov_b32_e32 v9, s23
	v_add_co_u32_e32 v8, vcc, s22, v0
	v_addc_co_u32_e32 v9, vcc, 0, v9, vcc
	v_cmp_gt_u64_e32 vcc, s[20:21], v[8:9]
	v_mov_b32_e32 v10, 0
	v_mov_b32_e32 v11, 0
	s_and_saveexec_b64 s[2:3], vcc
	s_cbranch_execz .LBB32_6
; %bb.5:                                ;   in Loop: Header=BB32_4 Depth=1
	v_mov_b32_e32 v9, s27
	v_add_co_u32_e64 v8, s[0:1], s26, v2
	v_addc_co_u32_e64 v9, s[0:1], 0, v9, s[0:1]
	global_load_dwordx2 v[10:11], v[8:9], off
.LBB32_6:                               ;   in Loop: Header=BB32_4 Depth=1
	s_or_b64 exec, exec, s[2:3]
	v_mov_b32_e32 v9, s23
	v_add_co_u32_e64 v8, s[0:1], s22, v20
	v_addc_co_u32_e64 v9, s[0:1], v21, v9, s[0:1]
	v_cmp_gt_u64_e64 s[0:1], s[20:21], v[8:9]
	v_mov_b32_e32 v8, 0
	v_mov_b32_e32 v12, 0
	;; [unrolled: 1-line block ×3, first 2 shown]
	s_and_saveexec_b64 s[6:7], s[0:1]
	s_cbranch_execz .LBB32_8
; %bb.7:                                ;   in Loop: Header=BB32_4 Depth=1
	v_mov_b32_e32 v9, s27
	v_add_co_u32_e64 v12, s[2:3], s26, v6
	v_addc_co_u32_e64 v13, s[2:3], 0, v9, s[2:3]
	global_load_dwordx2 v[12:13], v[12:13], off
.LBB32_8:                               ;   in Loop: Header=BB32_4 Depth=1
	s_or_b64 exec, exec, s[6:7]
	v_mov_b32_e32 v9, s23
	v_add_co_u32_e64 v14, s[2:3], s22, v18
	v_addc_co_u32_e64 v15, s[2:3], v19, v9, s[2:3]
	v_cmp_gt_u64_e64 s[2:3], s[20:21], v[14:15]
	v_mov_b32_e32 v9, 0
	s_and_saveexec_b64 s[8:9], s[2:3]
	s_cbranch_execz .LBB32_10
; %bb.9:                                ;   in Loop: Header=BB32_4 Depth=1
	v_mov_b32_e32 v9, s27
	v_add_co_u32_e64 v8, s[6:7], s26, v16
	v_addc_co_u32_e64 v9, s[6:7], v9, v17, s[6:7]
	global_load_dwordx2 v[8:9], v[8:9], off
.LBB32_10:                              ;   in Loop: Header=BB32_4 Depth=1
	s_or_b64 exec, exec, s[8:9]
	v_mov_b32_e32 v15, s23
	v_add_co_u32_e64 v14, s[6:7], s22, v1
	v_addc_co_u32_e64 v15, s[6:7], v7, v15, s[6:7]
	v_cmp_gt_u64_e64 s[6:7], s[20:21], v[14:15]
	v_mov_b32_e32 v14, 0
	v_mov_b32_e32 v15, 0
	s_and_saveexec_b64 s[24:25], s[6:7]
	s_cbranch_execz .LBB32_12
; %bb.11:                               ;   in Loop: Header=BB32_4 Depth=1
	v_mov_b32_e32 v15, s27
	v_add_co_u32_e64 v14, s[8:9], s26, v4
	v_addc_co_u32_e64 v15, s[8:9], v15, v5, s[8:9]
	global_load_dwordx2 v[14:15], v[14:15], off
.LBB32_12:                              ;   in Loop: Header=BB32_4 Depth=1
	s_or_b64 exec, exec, s[24:25]
	global_load_dwordx2 v[24:25], v3, s[12:13]
	s_waitcnt vmcnt(0)
	v_mul_f32_e32 v23, s15, v25
	v_mul_f32_e32 v22, s14, v25
	v_fma_f32 v23, v24, s14, -v23
	v_fmac_f32_e32 v22, s15, v24
	s_and_saveexec_b64 s[8:9], vcc
	s_cbranch_execnz .LBB32_16
; %bb.13:                               ;   in Loop: Header=BB32_4 Depth=1
	s_or_b64 exec, exec, s[8:9]
	s_and_saveexec_b64 s[8:9], s[0:1]
	s_cbranch_execnz .LBB32_17
.LBB32_14:                              ;   in Loop: Header=BB32_4 Depth=1
	s_or_b64 exec, exec, s[8:9]
	s_and_saveexec_b64 s[0:1], s[2:3]
	s_cbranch_execnz .LBB32_18
.LBB32_15:                              ;   in Loop: Header=BB32_4 Depth=1
	s_or_b64 exec, exec, s[0:1]
	s_and_saveexec_b64 s[0:1], s[6:7]
	s_cbranch_execz .LBB32_3
	s_branch .LBB32_19
.LBB32_16:                              ;   in Loop: Header=BB32_4 Depth=1
	v_mov_b32_e32 v25, s27
	v_add_co_u32_e32 v24, vcc, s26, v2
	v_mul_f32_e32 v26, v11, v22
	v_mul_f32_e32 v27, v11, v23
	v_addc_co_u32_e32 v25, vcc, 0, v25, vcc
	v_fma_f32 v26, v10, v23, -v26
	v_fmac_f32_e32 v27, v10, v22
	global_store_dwordx2 v[24:25], v[26:27], off
	s_or_b64 exec, exec, s[8:9]
	s_and_saveexec_b64 s[8:9], s[0:1]
	s_cbranch_execz .LBB32_14
.LBB32_17:                              ;   in Loop: Header=BB32_4 Depth=1
	v_mul_f32_e32 v10, v13, v22
	v_mul_f32_e32 v11, v13, v23
	v_fma_f32 v10, v12, v23, -v10
	v_fmac_f32_e32 v11, v12, v22
	v_mov_b32_e32 v13, s27
	v_add_co_u32_e32 v12, vcc, s26, v6
	v_addc_co_u32_e32 v13, vcc, 0, v13, vcc
	global_store_dwordx2 v[12:13], v[10:11], off
	s_or_b64 exec, exec, s[8:9]
	s_and_saveexec_b64 s[0:1], s[2:3]
	s_cbranch_execz .LBB32_15
.LBB32_18:                              ;   in Loop: Header=BB32_4 Depth=1
	v_mul_f32_e32 v10, v9, v22
	v_mul_f32_e32 v11, v9, v23
	v_fma_f32 v10, v8, v23, -v10
	v_fmac_f32_e32 v11, v8, v22
	v_mov_b32_e32 v9, s27
	v_add_co_u32_e32 v8, vcc, s26, v16
	v_addc_co_u32_e32 v9, vcc, v9, v17, vcc
	global_store_dwordx2 v[8:9], v[10:11], off
	s_or_b64 exec, exec, s[0:1]
	s_and_saveexec_b64 s[0:1], s[6:7]
	s_cbranch_execz .LBB32_3
.LBB32_19:                              ;   in Loop: Header=BB32_4 Depth=1
	v_mul_f32_e32 v8, v15, v22
	v_mul_f32_e32 v9, v15, v23
	v_mov_b32_e32 v11, s27
	v_add_co_u32_e32 v10, vcc, s26, v4
	v_fma_f32 v8, v14, v23, -v8
	v_fmac_f32_e32 v9, v14, v22
	v_addc_co_u32_e32 v11, vcc, v11, v5, vcc
	global_store_dwordx2 v[10:11], v[8:9], off
	s_branch .LBB32_3
.LBB32_20:
	s_cbranch_execz .LBB32_22
	s_branch .LBB32_25
.LBB32_21:
.LBB32_22:
	v_mov_b32_e32 v3, 0
	v_lshlrev_b32_e32 v2, 2, v0
	s_mov_b32 s0, 0
	v_cmp_gt_i64_e32 vcc, s[10:11], v[2:3]
	s_and_saveexec_b64 s[2:3], vcc
	s_cbranch_execz .LBB32_25
; %bb.23:
	s_load_dword s1, s[4:5], 0xd4c
	v_lshlrev_b32_e32 v1, 5, v0
	s_mov_b64 s[4:5], 0
	s_mov_b64 s[6:7], 0xffff
	v_mov_b32_e32 v6, s0
	s_waitcnt lgkmcnt(0)
	s_and_b32 s1, s1, 0xffff
	s_lshl_b32 s8, s1, 2
	s_add_u32 s2, s16, s18
	s_addc_u32 s3, s17, s19
	v_add_lshl_u32 v2, v0, s1, 2
	v_mov_b32_e32 v4, s3
	v_add_co_u32_e32 v0, vcc, s2, v1
	v_addc_co_u32_e32 v1, vcc, 0, v4, vcc
	s_lshl_b32 s9, s1, 5
	v_mov_b32_e32 v7, s0
	v_pk_mov_b32 v[4:5], v[2:3], v[2:3] op_sel:[0,1]
.LBB32_24:                              ; =>This Inner Loop Header: Depth=1
	global_load_dwordx2 v[16:17], v3, s[12:13]
	global_load_dwordx4 v[8:11], v[0:1], off
	global_load_dwordx4 v[12:15], v[0:1], off offset:16
	v_cmp_le_i64_e32 vcc, s[10:11], v[4:5]
	v_cmp_lt_u64_e64 s[0:1], s[6:7], v[4:5]
	s_or_b64 s[0:1], vcc, s[0:1]
	v_add_co_u32_e64 v4, s[2:3], s8, v4
	s_and_b64 s[0:1], exec, s[0:1]
	v_addc_co_u32_e64 v5, s[2:3], v5, v6, s[2:3]
	s_or_b64 s[4:5], s[0:1], s[4:5]
	s_waitcnt vmcnt(2)
	v_mul_f32_e32 v2, s15, v17
	v_mul_f32_e32 v20, s14, v17
	v_fma_f32 v2, v16, s14, -v2
	v_fmac_f32_e32 v20, s15, v16
	s_waitcnt vmcnt(1)
	v_mul_f32_e32 v16, v9, v20
	v_mul_f32_e32 v17, v9, v2
	;; [unrolled: 1-line block ×4, first 2 shown]
	s_waitcnt vmcnt(0)
	v_mul_f32_e32 v21, v13, v20
	v_mul_f32_e32 v9, v13, v2
	;; [unrolled: 1-line block ×4, first 2 shown]
	v_fma_f32 v16, v8, v2, -v16
	v_fmac_f32_e32 v17, v8, v20
	v_fma_f32 v18, v10, v2, -v18
	v_fmac_f32_e32 v19, v10, v20
	;; [unrolled: 2-line block ×4, first 2 shown]
	global_store_dwordx4 v[0:1], v[16:19], off
	global_store_dwordx4 v[0:1], v[8:11], off offset:16
	v_add_co_u32_e32 v0, vcc, s9, v0
	v_addc_co_u32_e32 v1, vcc, v1, v7, vcc
	s_andn2_b64 exec, exec, s[4:5]
	s_cbranch_execnz .LBB32_24
.LBB32_25:
	s_endpgm
	.section	.rodata,"a",@progbits
	.p2align	6, 0x0
	.amdhsa_kernel _ZN2at6native12_GLOBAL__N_125multi_tensor_apply_kernelINS1_18TensorListMetadataILi1EEENS1_27BinaryOpScalarTensorFunctorIN3c107complexIfEELi1ELi1ELi0EEEJSt10multipliesIS8_EPS8_S8_EEEvT_T0_DpT1_
		.amdhsa_group_segment_fixed_size 0
		.amdhsa_private_segment_fixed_size 0
		.amdhsa_kernarg_size 3648
		.amdhsa_user_sgpr_count 6
		.amdhsa_user_sgpr_private_segment_buffer 1
		.amdhsa_user_sgpr_dispatch_ptr 0
		.amdhsa_user_sgpr_queue_ptr 0
		.amdhsa_user_sgpr_kernarg_segment_ptr 1
		.amdhsa_user_sgpr_dispatch_id 0
		.amdhsa_user_sgpr_flat_scratch_init 0
		.amdhsa_user_sgpr_kernarg_preload_length 0
		.amdhsa_user_sgpr_kernarg_preload_offset 0
		.amdhsa_user_sgpr_private_segment_size 0
		.amdhsa_uses_dynamic_stack 0
		.amdhsa_system_sgpr_private_segment_wavefront_offset 0
		.amdhsa_system_sgpr_workgroup_id_x 1
		.amdhsa_system_sgpr_workgroup_id_y 0
		.amdhsa_system_sgpr_workgroup_id_z 0
		.amdhsa_system_sgpr_workgroup_info 0
		.amdhsa_system_vgpr_workitem_id 0
		.amdhsa_next_free_vgpr 28
		.amdhsa_next_free_sgpr 30
		.amdhsa_accum_offset 28
		.amdhsa_reserve_vcc 1
		.amdhsa_reserve_flat_scratch 0
		.amdhsa_float_round_mode_32 0
		.amdhsa_float_round_mode_16_64 0
		.amdhsa_float_denorm_mode_32 3
		.amdhsa_float_denorm_mode_16_64 3
		.amdhsa_dx10_clamp 1
		.amdhsa_ieee_mode 1
		.amdhsa_fp16_overflow 0
		.amdhsa_tg_split 0
		.amdhsa_exception_fp_ieee_invalid_op 0
		.amdhsa_exception_fp_denorm_src 0
		.amdhsa_exception_fp_ieee_div_zero 0
		.amdhsa_exception_fp_ieee_overflow 0
		.amdhsa_exception_fp_ieee_underflow 0
		.amdhsa_exception_fp_ieee_inexact 0
		.amdhsa_exception_int_div_zero 0
	.end_amdhsa_kernel
	.section	.text._ZN2at6native12_GLOBAL__N_125multi_tensor_apply_kernelINS1_18TensorListMetadataILi1EEENS1_27BinaryOpScalarTensorFunctorIN3c107complexIfEELi1ELi1ELi0EEEJSt10multipliesIS8_EPS8_S8_EEEvT_T0_DpT1_,"axG",@progbits,_ZN2at6native12_GLOBAL__N_125multi_tensor_apply_kernelINS1_18TensorListMetadataILi1EEENS1_27BinaryOpScalarTensorFunctorIN3c107complexIfEELi1ELi1ELi0EEEJSt10multipliesIS8_EPS8_S8_EEEvT_T0_DpT1_,comdat
.Lfunc_end32:
	.size	_ZN2at6native12_GLOBAL__N_125multi_tensor_apply_kernelINS1_18TensorListMetadataILi1EEENS1_27BinaryOpScalarTensorFunctorIN3c107complexIfEELi1ELi1ELi0EEEJSt10multipliesIS8_EPS8_S8_EEEvT_T0_DpT1_, .Lfunc_end32-_ZN2at6native12_GLOBAL__N_125multi_tensor_apply_kernelINS1_18TensorListMetadataILi1EEENS1_27BinaryOpScalarTensorFunctorIN3c107complexIfEELi1ELi1ELi0EEEJSt10multipliesIS8_EPS8_S8_EEEvT_T0_DpT1_
                                        ; -- End function
	.section	.AMDGPU.csdata,"",@progbits
; Kernel info:
; codeLenInByte = 1272
; NumSgprs: 34
; NumVgprs: 28
; NumAgprs: 0
; TotalNumVgprs: 28
; ScratchSize: 0
; MemoryBound: 0
; FloatMode: 240
; IeeeMode: 1
; LDSByteSize: 0 bytes/workgroup (compile time only)
; SGPRBlocks: 4
; VGPRBlocks: 3
; NumSGPRsForWavesPerEU: 34
; NumVGPRsForWavesPerEU: 28
; AccumOffset: 28
; Occupancy: 8
; WaveLimiterHint : 0
; COMPUTE_PGM_RSRC2:SCRATCH_EN: 0
; COMPUTE_PGM_RSRC2:USER_SGPR: 6
; COMPUTE_PGM_RSRC2:TRAP_HANDLER: 0
; COMPUTE_PGM_RSRC2:TGID_X_EN: 1
; COMPUTE_PGM_RSRC2:TGID_Y_EN: 0
; COMPUTE_PGM_RSRC2:TGID_Z_EN: 0
; COMPUTE_PGM_RSRC2:TIDIG_COMP_CNT: 0
; COMPUTE_PGM_RSRC3_GFX90A:ACCUM_OFFSET: 6
; COMPUTE_PGM_RSRC3_GFX90A:TG_SPLIT: 0
	.section	.text._ZN2at6native12_GLOBAL__N_125multi_tensor_apply_kernelINS1_18TensorListMetadataILi1EEENS1_27BinaryOpScalarTensorFunctorIbLi1ELi1ELi0EEEJSt10multipliesIbEPbbEEEvT_T0_DpT1_,"axG",@progbits,_ZN2at6native12_GLOBAL__N_125multi_tensor_apply_kernelINS1_18TensorListMetadataILi1EEENS1_27BinaryOpScalarTensorFunctorIbLi1ELi1ELi0EEEJSt10multipliesIbEPbbEEEvT_T0_DpT1_,comdat
	.globl	_ZN2at6native12_GLOBAL__N_125multi_tensor_apply_kernelINS1_18TensorListMetadataILi1EEENS1_27BinaryOpScalarTensorFunctorIbLi1ELi1ELi0EEEJSt10multipliesIbEPbbEEEvT_T0_DpT1_ ; -- Begin function _ZN2at6native12_GLOBAL__N_125multi_tensor_apply_kernelINS1_18TensorListMetadataILi1EEENS1_27BinaryOpScalarTensorFunctorIbLi1ELi1ELi0EEEJSt10multipliesIbEPbbEEEvT_T0_DpT1_
	.p2align	8
	.type	_ZN2at6native12_GLOBAL__N_125multi_tensor_apply_kernelINS1_18TensorListMetadataILi1EEENS1_27BinaryOpScalarTensorFunctorIbLi1ELi1ELi0EEEJSt10multipliesIbEPbbEEEvT_T0_DpT1_,@function
_ZN2at6native12_GLOBAL__N_125multi_tensor_apply_kernelINS1_18TensorListMetadataILi1EEENS1_27BinaryOpScalarTensorFunctorIbLi1ELi1ELi0EEEJSt10multipliesIbEPbbEEEvT_T0_DpT1_: ; @_ZN2at6native12_GLOBAL__N_125multi_tensor_apply_kernelINS1_18TensorListMetadataILi1EEENS1_27BinaryOpScalarTensorFunctorIbLi1ELi1ELi0EEEJSt10multipliesIbEPbbEEEvT_T0_DpT1_
; %bb.0:
	v_mov_b32_e32 v1, s6
	global_load_ubyte v1, v1, s[4:5] offset:1760
	s_load_dword s0, s[4:5], 0xd38
	s_mul_i32 s2, s6, 3
	s_mul_hi_u32 s1, s6, 3
	s_waitcnt lgkmcnt(0)
	s_bitcmp1_b32 s0, 0
	s_cselect_b64 s[10:11], -1, 0
	s_add_u32 s0, s4, s6
	s_addc_u32 s3, s5, 0
	s_add_u32 s0, s0, s2
	s_addc_u32 s1, s3, s1
	s_load_dword s2, s[0:1], 0x820
	s_waitcnt vmcnt(0)
	v_readfirstlane_b32 s0, v1
	s_lshl_b32 s3, s0, 3
	s_load_dwordx2 s[0:1], s[4:5], s3 offset:0x0
	s_load_dwordx2 s[12:13], s[4:5], 0xd30
	s_load_dwordx2 s[6:7], s[4:5], s3 offset:0x370
	s_waitcnt lgkmcnt(0)
	s_ashr_i32 s3, s2, 31
	s_lshl_b64 s[2:3], s[2:3], 16
	s_add_u32 s22, s0, s2
	s_addc_u32 s23, s1, s3
	s_sub_u32 s14, s6, s2
	s_subb_u32 s15, s7, s3
	s_or_b32 s6, s6, s22
	s_and_b32 s6, s6, 3
	s_cmp_eq_u32 s6, 0
	s_cbranch_scc1 .LBB33_21
; %bb.1:
	v_cmp_lt_i64_e64 s[6:7], s[14:15], 1
	s_and_b64 vcc, exec, s[6:7]
	s_cbranch_vccnz .LBB33_20
; %bb.2:
	s_load_dword s6, s[4:5], 0xd4c
	v_mov_b32_e32 v2, 0x10000
	v_mov_b32_e32 v3, 0
	v_cmp_lt_u64_e32 vcc, s[14:15], v[2:3]
	v_mov_b32_e32 v4, s3
	s_waitcnt lgkmcnt(0)
	s_and_b32 s8, s6, 0xffff
	s_and_b64 s[6:7], vcc, exec
	s_cselect_b32 s17, s15, 0
	s_cselect_b32 s16, s14, 0x10000
	s_lshl_b32 s9, s8, 1
	s_mul_i32 s6, s8, 3
	s_lshl_b32 s24, s8, 2
	s_add_u32 s7, s2, s6
	v_add_co_u32_e32 v5, vcc, s2, v0
	s_addc_u32 s18, s3, 0
	v_addc_co_u32_e32 v4, vcc, 0, v4, vcc
	s_add_u32 s7, s0, s7
	v_mov_b32_e32 v7, s1
	v_add_co_u32_e32 v6, vcc, s0, v5
	s_addc_u32 s18, s1, s18
	v_addc_co_u32_e32 v7, vcc, v7, v4, vcc
	s_add_u32 s2, s2, s9
	v_mov_b32_e32 v9, s18
	v_add_co_u32_e32 v8, vcc, s7, v0
	s_addc_u32 s3, s3, 0
	v_addc_co_u32_e32 v9, vcc, 0, v9, vcc
	s_add_u32 s2, s0, s2
	v_add_co_u32_e32 v10, vcc, s6, v0
	s_addc_u32 s3, s1, s3
	v_addc_co_u32_e64 v11, s[6:7], 0, 0, vcc
	v_mov_b32_e32 v13, s3
	v_add_co_u32_e32 v12, vcc, s2, v0
	v_addc_co_u32_e32 v13, vcc, 0, v13, vcc
	s_add_u32 s0, s0, s8
	v_add_co_u32_e32 v14, vcc, s9, v0
	s_addc_u32 s1, s1, 0
	v_addc_co_u32_e64 v15, s[2:3], 0, 0, vcc
	v_mov_b32_e32 v17, s1
	v_add_co_u32_e32 v16, vcc, s0, v5
	v_addc_co_u32_e32 v17, vcc, v17, v4, vcc
	v_add_co_u32_e32 v18, vcc, s8, v0
	v_mov_b32_e32 v1, 0
	v_addc_co_u32_e64 v19, s[0:1], 0, 0, vcc
	s_mov_b64 s[18:19], 0
	v_pk_mov_b32 v[4:5], s[14:15], s[14:15] op_sel:[0,1]
	s_branch .LBB33_4
.LBB33_3:                               ;   in Loop: Header=BB33_4 Depth=1
	s_or_b64 exec, exec, s[0:1]
	s_add_u32 s18, s18, s24
	s_addc_u32 s19, s19, 0
	v_cmp_lt_i64_e32 vcc, s[18:19], v[4:5]
	v_cmp_lt_u64_e64 s[0:1], s[18:19], v[2:3]
	s_and_b64 s[0:1], vcc, s[0:1]
	s_and_b64 vcc, exec, s[0:1]
	s_cbranch_vccz .LBB33_20
.LBB33_4:                               ; =>This Inner Loop Header: Depth=1
	v_mov_b32_e32 v21, s19
	v_add_co_u32_e32 v20, vcc, s18, v0
	v_addc_co_u32_e32 v21, vcc, 0, v21, vcc
	v_cmp_gt_u64_e32 vcc, s[16:17], v[20:21]
	v_mov_b32_e32 v21, 0
	s_and_saveexec_b64 s[2:3], vcc
	s_cbranch_execz .LBB33_6
; %bb.5:                                ;   in Loop: Header=BB33_4 Depth=1
	v_mov_b32_e32 v21, s19
	v_add_co_u32_e64 v20, s[0:1], s18, v6
	v_addc_co_u32_e64 v21, s[0:1], v7, v21, s[0:1]
	global_load_ubyte v21, v[20:21], off
.LBB33_6:                               ;   in Loop: Header=BB33_4 Depth=1
	s_or_b64 exec, exec, s[2:3]
	v_mov_b32_e32 v20, s19
	v_add_co_u32_e64 v22, s[0:1], s18, v18
	v_addc_co_u32_e64 v23, s[0:1], v19, v20, s[0:1]
	v_cmp_gt_u64_e64 s[0:1], s[16:17], v[22:23]
	v_mov_b32_e32 v20, 0
	v_mov_b32_e32 v22, 0
	s_and_saveexec_b64 s[6:7], s[0:1]
	s_cbranch_execz .LBB33_8
; %bb.7:                                ;   in Loop: Header=BB33_4 Depth=1
	v_mov_b32_e32 v23, s19
	v_add_co_u32_e64 v22, s[2:3], s18, v16
	v_addc_co_u32_e64 v23, s[2:3], v17, v23, s[2:3]
	global_load_ubyte v22, v[22:23], off
.LBB33_8:                               ;   in Loop: Header=BB33_4 Depth=1
	s_or_b64 exec, exec, s[6:7]
	v_mov_b32_e32 v23, s19
	v_add_co_u32_e64 v24, s[2:3], s18, v14
	v_addc_co_u32_e64 v25, s[2:3], v15, v23, s[2:3]
	v_cmp_gt_u64_e64 s[2:3], s[16:17], v[24:25]
	s_and_saveexec_b64 s[8:9], s[2:3]
	s_cbranch_execz .LBB33_10
; %bb.9:                                ;   in Loop: Header=BB33_4 Depth=1
	v_mov_b32_e32 v20, s19
	v_add_co_u32_e64 v24, s[6:7], s18, v12
	v_addc_co_u32_e64 v25, s[6:7], v13, v20, s[6:7]
	global_load_ubyte v20, v[24:25], off
.LBB33_10:                              ;   in Loop: Header=BB33_4 Depth=1
	s_or_b64 exec, exec, s[8:9]
	v_mov_b32_e32 v23, s19
	v_add_co_u32_e64 v24, s[6:7], s18, v10
	v_addc_co_u32_e64 v25, s[6:7], v11, v23, s[6:7]
	v_cmp_gt_u64_e64 s[6:7], s[16:17], v[24:25]
	v_mov_b32_e32 v23, 0
	s_and_saveexec_b64 s[20:21], s[6:7]
	s_cbranch_execz .LBB33_12
; %bb.11:                               ;   in Loop: Header=BB33_4 Depth=1
	v_mov_b32_e32 v23, s19
	v_add_co_u32_e64 v24, s[8:9], s18, v8
	v_addc_co_u32_e64 v25, s[8:9], v9, v23, s[8:9]
	global_load_ubyte v23, v[24:25], off
.LBB33_12:                              ;   in Loop: Header=BB33_4 Depth=1
	s_or_b64 exec, exec, s[20:21]
	global_load_ubyte v24, v1, s[12:13]
	s_waitcnt vmcnt(0)
	v_cmp_ne_u16_e64 s[8:9], 0, v24
	s_and_saveexec_b64 s[20:21], vcc
	s_cbranch_execnz .LBB33_16
; %bb.13:                               ;   in Loop: Header=BB33_4 Depth=1
	s_or_b64 exec, exec, s[20:21]
	s_and_saveexec_b64 s[20:21], s[0:1]
	s_cbranch_execnz .LBB33_17
.LBB33_14:                              ;   in Loop: Header=BB33_4 Depth=1
	s_or_b64 exec, exec, s[20:21]
	s_and_saveexec_b64 s[0:1], s[2:3]
	s_cbranch_execnz .LBB33_18
.LBB33_15:                              ;   in Loop: Header=BB33_4 Depth=1
	s_or_b64 exec, exec, s[0:1]
	s_and_saveexec_b64 s[0:1], s[6:7]
	s_cbranch_execz .LBB33_3
	s_branch .LBB33_19
.LBB33_16:                              ;   in Loop: Header=BB33_4 Depth=1
	v_cmp_ne_u16_sdwa s[26:27], v21, v1 src0_sel:BYTE_0 src1_sel:DWORD
	s_and_b64 s[26:27], s[26:27], s[8:9]
	v_mov_b32_e32 v25, s19
	v_add_co_u32_e32 v24, vcc, s18, v6
	s_and_b64 s[26:27], s[26:27], s[10:11]
	v_addc_co_u32_e32 v25, vcc, v7, v25, vcc
	v_cndmask_b32_e64 v21, 0, 1, s[26:27]
	global_store_byte v[24:25], v21, off
	s_or_b64 exec, exec, s[20:21]
	s_and_saveexec_b64 s[20:21], s[0:1]
	s_cbranch_execz .LBB33_14
.LBB33_17:                              ;   in Loop: Header=BB33_4 Depth=1
	v_cmp_ne_u16_sdwa s[0:1], v22, v1 src0_sel:BYTE_0 src1_sel:DWORD
	s_and_b64 s[0:1], s[0:1], s[8:9]
	s_and_b64 s[0:1], s[0:1], s[10:11]
	v_mov_b32_e32 v22, s19
	v_add_co_u32_e32 v24, vcc, s18, v16
	v_cndmask_b32_e64 v21, 0, 1, s[0:1]
	v_addc_co_u32_e32 v25, vcc, v17, v22, vcc
	global_store_byte v[24:25], v21, off
	s_or_b64 exec, exec, s[20:21]
	s_and_saveexec_b64 s[0:1], s[2:3]
	s_cbranch_execz .LBB33_15
.LBB33_18:                              ;   in Loop: Header=BB33_4 Depth=1
	v_cmp_ne_u16_sdwa s[2:3], v20, v1 src0_sel:BYTE_0 src1_sel:DWORD
	s_and_b64 s[2:3], s[2:3], s[8:9]
	s_and_b64 s[2:3], s[2:3], s[10:11]
	v_mov_b32_e32 v21, s19
	v_add_co_u32_e32 v20, vcc, s18, v12
	v_cndmask_b32_e64 v22, 0, 1, s[2:3]
	v_addc_co_u32_e32 v21, vcc, v13, v21, vcc
	global_store_byte v[20:21], v22, off
	s_or_b64 exec, exec, s[0:1]
	s_and_saveexec_b64 s[0:1], s[6:7]
	s_cbranch_execz .LBB33_3
.LBB33_19:                              ;   in Loop: Header=BB33_4 Depth=1
	v_cmp_ne_u16_sdwa s[2:3], v23, v1 src0_sel:BYTE_0 src1_sel:DWORD
	s_and_b64 s[2:3], s[2:3], s[8:9]
	s_and_b64 s[2:3], s[2:3], s[10:11]
	v_mov_b32_e32 v21, s19
	v_add_co_u32_e32 v20, vcc, s18, v8
	v_cndmask_b32_e64 v22, 0, 1, s[2:3]
	v_addc_co_u32_e32 v21, vcc, v9, v21, vcc
	global_store_byte v[20:21], v22, off
	s_branch .LBB33_3
.LBB33_20:
	s_cbranch_execz .LBB33_22
	s_branch .LBB33_25
.LBB33_21:
.LBB33_22:
	v_lshlrev_b32_e32 v0, 2, v0
	v_mov_b32_e32 v1, 0
	v_cmp_gt_i64_e32 vcc, s[14:15], v[0:1]
	s_and_saveexec_b64 s[0:1], vcc
	s_cbranch_execz .LBB33_25
; %bb.23:
	s_load_dword s0, s[4:5], 0xd4c
	s_mov_b32 s1, 0
	s_mov_b64 s[6:7], 0
	v_mov_b32_e32 v4, s23
	s_mov_b32 s16, 0xffffff
	s_waitcnt lgkmcnt(0)
	s_and_b32 s0, s0, 0xffff
	s_lshl_b32 s17, s0, 2
	v_mov_b32_e32 v5, 0x1000000
	v_mov_b32_e32 v6, 0x10000
	;; [unrolled: 1-line block ×4, first 2 shown]
	s_mov_b64 s[8:9], 0xffff
	v_pk_mov_b32 v[2:3], v[0:1], v[0:1] op_sel:[0,1]
.LBB33_24:                              ; =>This Inner Loop Header: Depth=1
	v_add_co_u32_e32 v10, vcc, s22, v2
	v_addc_co_u32_e32 v11, vcc, v4, v3, vcc
	global_load_dword v0, v[10:11], off
	global_load_ubyte v9, v1, s[12:13]
	v_add_co_u32_e32 v2, vcc, s17, v2
	v_addc_co_u32_e32 v3, vcc, v8, v3, vcc
	v_cmp_le_i64_e32 vcc, s[14:15], v[2:3]
	v_cmp_lt_u64_e64 s[0:1], s[8:9], v[2:3]
	s_or_b64 s[18:19], vcc, s[0:1]
	s_waitcnt vmcnt(1)
	v_cmp_ne_u32_sdwa s[2:3], v0, v1 src0_sel:BYTE_0 src1_sel:DWORD
	s_waitcnt vmcnt(0)
	v_cmp_ne_u16_e32 vcc, 0, v9
	v_and_b32_e32 v9, 0xff00, v0
	v_and_b32_e32 v12, 0xff0000, v0
	v_cmp_lt_u32_e64 s[0:1], s16, v0
	s_and_b64 s[20:21], s[2:3], vcc
	v_cmp_ne_u32_e64 s[2:3], 0, v9
	v_cmp_ne_u32_e64 s[4:5], 0, v12
	s_and_b64 s[0:1], s[0:1], vcc
	s_and_b64 s[2:3], s[2:3], vcc
	s_and_b64 s[4:5], s[4:5], vcc
	s_and_b64 vcc, s[0:1], s[10:11]
	v_cndmask_b32_e32 v0, 0, v5, vcc
	s_and_b64 vcc, s[4:5], s[10:11]
	s_and_b64 s[0:1], s[20:21], s[10:11]
	v_cndmask_b32_e32 v12, 0, v6, vcc
	s_and_b64 vcc, s[2:3], s[10:11]
	v_cndmask_b32_e64 v9, 0, 1, s[0:1]
	v_cndmask_b32_e32 v13, 0, v7, vcc
	v_or_b32_e32 v0, v0, v12
	s_and_b64 s[0:1], exec, s[18:19]
	v_or3_b32 v0, v0, v13, v9
	s_or_b64 s[6:7], s[0:1], s[6:7]
	global_store_dword v[10:11], v0, off
	s_andn2_b64 exec, exec, s[6:7]
	s_cbranch_execnz .LBB33_24
.LBB33_25:
	s_endpgm
	.section	.rodata,"a",@progbits
	.p2align	6, 0x0
	.amdhsa_kernel _ZN2at6native12_GLOBAL__N_125multi_tensor_apply_kernelINS1_18TensorListMetadataILi1EEENS1_27BinaryOpScalarTensorFunctorIbLi1ELi1ELi0EEEJSt10multipliesIbEPbbEEEvT_T0_DpT1_
		.amdhsa_group_segment_fixed_size 0
		.amdhsa_private_segment_fixed_size 0
		.amdhsa_kernarg_size 3648
		.amdhsa_user_sgpr_count 6
		.amdhsa_user_sgpr_private_segment_buffer 1
		.amdhsa_user_sgpr_dispatch_ptr 0
		.amdhsa_user_sgpr_queue_ptr 0
		.amdhsa_user_sgpr_kernarg_segment_ptr 1
		.amdhsa_user_sgpr_dispatch_id 0
		.amdhsa_user_sgpr_flat_scratch_init 0
		.amdhsa_user_sgpr_kernarg_preload_length 0
		.amdhsa_user_sgpr_kernarg_preload_offset 0
		.amdhsa_user_sgpr_private_segment_size 0
		.amdhsa_uses_dynamic_stack 0
		.amdhsa_system_sgpr_private_segment_wavefront_offset 0
		.amdhsa_system_sgpr_workgroup_id_x 1
		.amdhsa_system_sgpr_workgroup_id_y 0
		.amdhsa_system_sgpr_workgroup_id_z 0
		.amdhsa_system_sgpr_workgroup_info 0
		.amdhsa_system_vgpr_workitem_id 0
		.amdhsa_next_free_vgpr 26
		.amdhsa_next_free_sgpr 28
		.amdhsa_accum_offset 28
		.amdhsa_reserve_vcc 1
		.amdhsa_reserve_flat_scratch 0
		.amdhsa_float_round_mode_32 0
		.amdhsa_float_round_mode_16_64 0
		.amdhsa_float_denorm_mode_32 3
		.amdhsa_float_denorm_mode_16_64 3
		.amdhsa_dx10_clamp 1
		.amdhsa_ieee_mode 1
		.amdhsa_fp16_overflow 0
		.amdhsa_tg_split 0
		.amdhsa_exception_fp_ieee_invalid_op 0
		.amdhsa_exception_fp_denorm_src 0
		.amdhsa_exception_fp_ieee_div_zero 0
		.amdhsa_exception_fp_ieee_overflow 0
		.amdhsa_exception_fp_ieee_underflow 0
		.amdhsa_exception_fp_ieee_inexact 0
		.amdhsa_exception_int_div_zero 0
	.end_amdhsa_kernel
	.section	.text._ZN2at6native12_GLOBAL__N_125multi_tensor_apply_kernelINS1_18TensorListMetadataILi1EEENS1_27BinaryOpScalarTensorFunctorIbLi1ELi1ELi0EEEJSt10multipliesIbEPbbEEEvT_T0_DpT1_,"axG",@progbits,_ZN2at6native12_GLOBAL__N_125multi_tensor_apply_kernelINS1_18TensorListMetadataILi1EEENS1_27BinaryOpScalarTensorFunctorIbLi1ELi1ELi0EEEJSt10multipliesIbEPbbEEEvT_T0_DpT1_,comdat
.Lfunc_end33:
	.size	_ZN2at6native12_GLOBAL__N_125multi_tensor_apply_kernelINS1_18TensorListMetadataILi1EEENS1_27BinaryOpScalarTensorFunctorIbLi1ELi1ELi0EEEJSt10multipliesIbEPbbEEEvT_T0_DpT1_, .Lfunc_end33-_ZN2at6native12_GLOBAL__N_125multi_tensor_apply_kernelINS1_18TensorListMetadataILi1EEENS1_27BinaryOpScalarTensorFunctorIbLi1ELi1ELi0EEEJSt10multipliesIbEPbbEEEvT_T0_DpT1_
                                        ; -- End function
	.section	.AMDGPU.csdata,"",@progbits
; Kernel info:
; codeLenInByte = 1292
; NumSgprs: 32
; NumVgprs: 26
; NumAgprs: 0
; TotalNumVgprs: 26
; ScratchSize: 0
; MemoryBound: 0
; FloatMode: 240
; IeeeMode: 1
; LDSByteSize: 0 bytes/workgroup (compile time only)
; SGPRBlocks: 3
; VGPRBlocks: 3
; NumSGPRsForWavesPerEU: 32
; NumVGPRsForWavesPerEU: 26
; AccumOffset: 28
; Occupancy: 8
; WaveLimiterHint : 0
; COMPUTE_PGM_RSRC2:SCRATCH_EN: 0
; COMPUTE_PGM_RSRC2:USER_SGPR: 6
; COMPUTE_PGM_RSRC2:TRAP_HANDLER: 0
; COMPUTE_PGM_RSRC2:TGID_X_EN: 1
; COMPUTE_PGM_RSRC2:TGID_Y_EN: 0
; COMPUTE_PGM_RSRC2:TGID_Z_EN: 0
; COMPUTE_PGM_RSRC2:TIDIG_COMP_CNT: 0
; COMPUTE_PGM_RSRC3_GFX90A:ACCUM_OFFSET: 6
; COMPUTE_PGM_RSRC3_GFX90A:TG_SPLIT: 0
	.section	.text._ZN2at6native12_GLOBAL__N_125multi_tensor_apply_kernelINS1_18TensorListMetadataILi1EEENS1_27BinaryOpScalarTensorFunctorIN3c104HalfELi1ELi1ELi0EEEJSt10multipliesIfEPS7_fEEEvT_T0_DpT1_,"axG",@progbits,_ZN2at6native12_GLOBAL__N_125multi_tensor_apply_kernelINS1_18TensorListMetadataILi1EEENS1_27BinaryOpScalarTensorFunctorIN3c104HalfELi1ELi1ELi0EEEJSt10multipliesIfEPS7_fEEEvT_T0_DpT1_,comdat
	.globl	_ZN2at6native12_GLOBAL__N_125multi_tensor_apply_kernelINS1_18TensorListMetadataILi1EEENS1_27BinaryOpScalarTensorFunctorIN3c104HalfELi1ELi1ELi0EEEJSt10multipliesIfEPS7_fEEEvT_T0_DpT1_ ; -- Begin function _ZN2at6native12_GLOBAL__N_125multi_tensor_apply_kernelINS1_18TensorListMetadataILi1EEENS1_27BinaryOpScalarTensorFunctorIN3c104HalfELi1ELi1ELi0EEEJSt10multipliesIfEPS7_fEEEvT_T0_DpT1_
	.p2align	8
	.type	_ZN2at6native12_GLOBAL__N_125multi_tensor_apply_kernelINS1_18TensorListMetadataILi1EEENS1_27BinaryOpScalarTensorFunctorIN3c104HalfELi1ELi1ELi0EEEJSt10multipliesIfEPS7_fEEEvT_T0_DpT1_,@function
_ZN2at6native12_GLOBAL__N_125multi_tensor_apply_kernelINS1_18TensorListMetadataILi1EEENS1_27BinaryOpScalarTensorFunctorIN3c104HalfELi1ELi1ELi0EEEJSt10multipliesIfEPS7_fEEEvT_T0_DpT1_: ; @_ZN2at6native12_GLOBAL__N_125multi_tensor_apply_kernelINS1_18TensorListMetadataILi1EEENS1_27BinaryOpScalarTensorFunctorIN3c104HalfELi1ELi1ELi0EEEJSt10multipliesIfEPS7_fEEEvT_T0_DpT1_
; %bb.0:
	v_mov_b32_e32 v1, s6
	global_load_ubyte v1, v1, s[4:5] offset:1760
	s_add_u32 s0, s4, s6
	s_mul_hi_u32 s1, s6, 3
	s_mul_i32 s6, s6, 3
	s_addc_u32 s2, s5, 0
	s_add_u32 s0, s0, s6
	s_addc_u32 s1, s2, s1
	s_load_dword s0, s[0:1], 0x820
	s_mov_b32 s7, 0
	s_load_dword s24, s[4:5], 0xd38
	s_waitcnt vmcnt(0)
	v_readfirstlane_b32 s1, v1
	s_lshl_b32 s1, s1, 3
	s_load_dwordx2 s[10:11], s[4:5], 0xd30
	s_load_dwordx2 s[2:3], s[4:5], s1 offset:0x370
	s_load_dwordx2 s[14:15], s[4:5], s1 offset:0x0
	s_waitcnt lgkmcnt(0)
	s_ashr_i32 s1, s0, 31
	s_lshl_b64 s[16:17], s[0:1], 17
	s_lshl_b64 s[0:1], s[0:1], 16
	s_and_b32 s6, s14, 7
	s_sub_u32 s12, s2, s0
	s_subb_u32 s13, s3, s1
	s_and_b32 s0, s2, 3
	s_mov_b32 s1, s7
	s_or_b64 s[0:1], s[6:7], s[0:1]
	s_cmp_eq_u64 s[0:1], 0
	s_cbranch_scc1 .LBB34_21
; %bb.1:
	v_cmp_lt_i64_e64 s[0:1], s[12:13], 1
	s_and_b64 vcc, exec, s[0:1]
	s_cbranch_vccnz .LBB34_20
; %bb.2:
	s_load_dword s0, s[4:5], 0xd4c
	v_mov_b32_e32 v2, 0x10000
	v_mov_b32_e32 v3, 0
	v_cmp_lt_u64_e32 vcc, s[12:13], v[2:3]
	v_lshlrev_b32_e32 v4, 1, v0
	s_waitcnt lgkmcnt(0)
	s_and_b32 s2, s0, 0xffff
	s_and_b64 s[0:1], vcc, exec
	s_cselect_b32 s19, s13, 0
	s_cselect_b32 s18, s12, 0x10000
	s_lshl_b32 s3, s2, 1
	s_lshl_b32 s26, s2, 2
	s_add_u32 s6, s14, s16
	s_addc_u32 s7, s15, s17
	v_mov_b32_e32 v5, s7
	v_add_co_u32_e32 v4, vcc, s6, v4
	s_mul_i32 s0, s2, 3
	v_addc_co_u32_e32 v5, vcc, 0, v5, vcc
	v_add_co_u32_e32 v10, vcc, s0, v0
	v_addc_co_u32_e64 v11, s[0:1], 0, 0, vcc
	v_add_co_u32_e32 v12, vcc, s3, v0
	v_addc_co_u32_e64 v13, s[0:1], 0, 0, vcc
	v_add_co_u32_e32 v14, vcc, s2, v0
	v_lshlrev_b32_e32 v6, 1, v14
	s_mov_b32 s25, 0
	v_addc_co_u32_e64 v15, s[0:1], 0, 0, vcc
	v_mov_b32_e32 v7, s7
	v_add_co_u32_e32 v6, vcc, s6, v6
	v_mov_b32_e32 v1, 0
	s_lshl_b32 s27, s2, 3
	s_mul_i32 s28, s2, 6
	s_mov_b32 s29, s25
	v_addc_co_u32_e32 v7, vcc, 0, v7, vcc
	s_mov_b64 s[20:21], 0
	v_pk_mov_b32 v[8:9], s[12:13], s[12:13] op_sel:[0,1]
	v_mov_b32_e32 v16, s25
	s_branch .LBB34_4
.LBB34_3:                               ;   in Loop: Header=BB34_4 Depth=1
	s_or_b64 exec, exec, s[0:1]
	s_add_u32 s20, s20, s26
	s_addc_u32 s21, s21, 0
	v_cmp_lt_i64_e32 vcc, s[20:21], v[8:9]
	v_cmp_lt_u64_e64 s[0:1], s[20:21], v[2:3]
	s_and_b64 s[0:1], vcc, s[0:1]
	v_add_co_u32_e32 v4, vcc, s27, v4
	v_addc_co_u32_e32 v5, vcc, v5, v16, vcc
	v_add_co_u32_e32 v6, vcc, s27, v6
	v_addc_co_u32_e32 v7, vcc, v7, v16, vcc
	s_and_b64 vcc, exec, s[0:1]
	s_cbranch_vccz .LBB34_20
.LBB34_4:                               ; =>This Inner Loop Header: Depth=1
	v_mov_b32_e32 v17, s21
	v_add_co_u32_e32 v18, vcc, s20, v0
	v_addc_co_u32_e32 v19, vcc, 0, v17, vcc
	v_cmp_gt_u64_e32 vcc, s[18:19], v[18:19]
	v_mov_b32_e32 v17, 0
	s_and_saveexec_b64 s[0:1], vcc
	s_cbranch_execz .LBB34_6
; %bb.5:                                ;   in Loop: Header=BB34_4 Depth=1
	global_load_ushort v17, v[4:5], off
.LBB34_6:                               ;   in Loop: Header=BB34_4 Depth=1
	s_or_b64 exec, exec, s[0:1]
	v_mov_b32_e32 v19, s21
	v_add_co_u32_e64 v18, s[0:1], s20, v14
	v_addc_co_u32_e64 v19, s[0:1], v15, v19, s[0:1]
	v_cmp_gt_u64_e64 s[0:1], s[18:19], v[18:19]
	v_mov_b32_e32 v18, 0
	v_mov_b32_e32 v19, 0
	s_and_saveexec_b64 s[2:3], s[0:1]
	s_cbranch_execz .LBB34_8
; %bb.7:                                ;   in Loop: Header=BB34_4 Depth=1
	global_load_ushort v19, v[6:7], off
.LBB34_8:                               ;   in Loop: Header=BB34_4 Depth=1
	s_or_b64 exec, exec, s[2:3]
	v_mov_b32_e32 v21, s21
	v_add_co_u32_e64 v20, s[2:3], s20, v12
	v_addc_co_u32_e64 v21, s[2:3], v13, v21, s[2:3]
	v_cmp_gt_u64_e64 s[2:3], s[18:19], v[20:21]
	s_and_saveexec_b64 s[8:9], s[2:3]
	s_cbranch_execz .LBB34_10
; %bb.9:                                ;   in Loop: Header=BB34_4 Depth=1
	v_mov_b32_e32 v18, s25
	v_add_co_u32_e64 v20, s[6:7], s26, v4
	v_addc_co_u32_e64 v21, s[6:7], v5, v18, s[6:7]
	global_load_ushort v18, v[20:21], off
.LBB34_10:                              ;   in Loop: Header=BB34_4 Depth=1
	s_or_b64 exec, exec, s[8:9]
	v_mov_b32_e32 v21, s21
	v_add_co_u32_e64 v20, s[6:7], s20, v10
	v_addc_co_u32_e64 v21, s[6:7], v11, v21, s[6:7]
	v_cmp_gt_u64_e64 s[6:7], s[18:19], v[20:21]
	v_mov_b32_e32 v20, 0
	s_and_saveexec_b64 s[22:23], s[6:7]
	s_cbranch_execz .LBB34_12
; %bb.11:                               ;   in Loop: Header=BB34_4 Depth=1
	v_mov_b32_e32 v21, s29
	v_add_co_u32_e64 v20, s[8:9], s28, v4
	v_addc_co_u32_e64 v21, s[8:9], v5, v21, s[8:9]
	global_load_ushort v20, v[20:21], off
.LBB34_12:                              ;   in Loop: Header=BB34_4 Depth=1
	s_or_b64 exec, exec, s[22:23]
	global_load_ushort v21, v1, s[10:11]
	s_waitcnt vmcnt(0)
	v_cvt_f32_f16_e32 v21, v21
	v_mul_f32_e32 v21, s24, v21
	s_and_saveexec_b64 s[8:9], vcc
	s_cbranch_execnz .LBB34_16
; %bb.13:                               ;   in Loop: Header=BB34_4 Depth=1
	s_or_b64 exec, exec, s[8:9]
	s_and_saveexec_b64 s[8:9], s[0:1]
	s_cbranch_execnz .LBB34_17
.LBB34_14:                              ;   in Loop: Header=BB34_4 Depth=1
	s_or_b64 exec, exec, s[8:9]
	s_and_saveexec_b64 s[0:1], s[2:3]
	s_cbranch_execnz .LBB34_18
.LBB34_15:                              ;   in Loop: Header=BB34_4 Depth=1
	s_or_b64 exec, exec, s[0:1]
	s_and_saveexec_b64 s[0:1], s[6:7]
	s_cbranch_execz .LBB34_3
	s_branch .LBB34_19
.LBB34_16:                              ;   in Loop: Header=BB34_4 Depth=1
	v_fma_mixlo_f16 v17, v21, v17, 0 op_sel_hi:[0,1,0]
	global_store_short v[4:5], v17, off
	s_or_b64 exec, exec, s[8:9]
	s_and_saveexec_b64 s[8:9], s[0:1]
	s_cbranch_execz .LBB34_14
.LBB34_17:                              ;   in Loop: Header=BB34_4 Depth=1
	v_fma_mixlo_f16 v17, v21, v19, 0 op_sel_hi:[0,1,0]
	global_store_short v[6:7], v17, off
	s_or_b64 exec, exec, s[8:9]
	s_and_saveexec_b64 s[0:1], s[2:3]
	s_cbranch_execz .LBB34_15
.LBB34_18:                              ;   in Loop: Header=BB34_4 Depth=1
	v_fma_mixlo_f16 v17, v21, v18, 0 op_sel_hi:[0,1,0]
	v_mov_b32_e32 v19, s25
	v_add_co_u32_e32 v18, vcc, s26, v4
	v_addc_co_u32_e32 v19, vcc, v5, v19, vcc
	global_store_short v[18:19], v17, off
	s_or_b64 exec, exec, s[0:1]
	s_and_saveexec_b64 s[0:1], s[6:7]
	s_cbranch_execz .LBB34_3
.LBB34_19:                              ;   in Loop: Header=BB34_4 Depth=1
	v_mov_b32_e32 v19, s29
	v_add_co_u32_e32 v18, vcc, s28, v4
	v_fma_mixlo_f16 v17, v21, v20, 0 op_sel_hi:[0,1,0]
	v_addc_co_u32_e32 v19, vcc, v5, v19, vcc
	global_store_short v[18:19], v17, off
	s_branch .LBB34_3
.LBB34_20:
	s_cbranch_execz .LBB34_22
	s_branch .LBB34_25
.LBB34_21:
.LBB34_22:
	v_mov_b32_e32 v3, 0
	v_lshlrev_b32_e32 v2, 2, v0
	s_mov_b32 s0, 0
	v_cmp_gt_i64_e32 vcc, s[12:13], v[2:3]
	s_and_saveexec_b64 s[2:3], vcc
	s_cbranch_execz .LBB34_25
; %bb.23:
	s_load_dword s1, s[4:5], 0xd4c
	v_lshlrev_b32_e32 v1, 3, v0
	s_mov_b64 s[4:5], 0xffff
	v_mov_b32_e32 v6, s0
	v_mov_b32_e32 v7, s0
	s_waitcnt lgkmcnt(0)
	s_and_b32 s1, s1, 0xffff
	s_add_u32 s2, s14, s16
	s_addc_u32 s3, s15, s17
	v_mov_b32_e32 v2, s3
	v_add_co_u32_e32 v4, vcc, s2, v1
	v_addc_co_u32_e32 v5, vcc, 0, v2, vcc
	v_add_lshl_u32 v2, v0, s1, 2
	s_lshl_b32 s6, s1, 3
	s_lshl_b32 s7, s1, 2
	s_mov_b64 s[2:3], 0
	v_pk_mov_b32 v[0:1], v[2:3], v[2:3] op_sel:[0,1]
.LBB34_24:                              ; =>This Inner Loop Header: Depth=1
	global_load_ushort v2, v3, s[10:11]
	global_load_dwordx2 v[8:9], v[4:5], off
	v_cmp_le_i64_e32 vcc, s[12:13], v[0:1]
	v_cmp_lt_u64_e64 s[0:1], s[4:5], v[0:1]
	s_or_b64 s[0:1], vcc, s[0:1]
	s_and_b64 s[0:1], exec, s[0:1]
	s_or_b64 s[2:3], s[0:1], s[2:3]
	s_waitcnt vmcnt(1)
	v_cvt_f32_f16_e32 v2, v2
	s_waitcnt vmcnt(0)
	v_cvt_f32_f16_sdwa v11, v9 dst_sel:DWORD dst_unused:UNUSED_PAD src0_sel:WORD_1
	v_cvt_f32_f16_sdwa v13, v8 dst_sel:DWORD dst_unused:UNUSED_PAD src0_sel:WORD_1
	v_cvt_f32_f16_e32 v12, v8
	v_cvt_f32_f16_e32 v10, v9
	v_mul_f32_e32 v2, s24, v2
	v_pk_mul_f32 v[8:9], v[2:3], v[12:13] op_sel_hi:[0,1]
	v_pk_mul_f32 v[10:11], v[2:3], v[10:11] op_sel_hi:[0,1]
	v_cvt_f16_f32_e32 v2, v11
	v_cvt_f16_f32_e32 v10, v10
	v_cvt_f16_f32_e32 v11, v9
	v_cvt_f16_f32_e32 v8, v8
	v_pack_b32_f16 v9, v10, v2
	v_pack_b32_f16 v8, v8, v11
	global_store_dwordx2 v[4:5], v[8:9], off
	v_add_co_u32_e32 v4, vcc, s6, v4
	v_addc_co_u32_e32 v5, vcc, v5, v6, vcc
	v_add_co_u32_e32 v0, vcc, s7, v0
	v_addc_co_u32_e32 v1, vcc, v1, v7, vcc
	s_andn2_b64 exec, exec, s[2:3]
	s_cbranch_execnz .LBB34_24
.LBB34_25:
	s_endpgm
	.section	.rodata,"a",@progbits
	.p2align	6, 0x0
	.amdhsa_kernel _ZN2at6native12_GLOBAL__N_125multi_tensor_apply_kernelINS1_18TensorListMetadataILi1EEENS1_27BinaryOpScalarTensorFunctorIN3c104HalfELi1ELi1ELi0EEEJSt10multipliesIfEPS7_fEEEvT_T0_DpT1_
		.amdhsa_group_segment_fixed_size 0
		.amdhsa_private_segment_fixed_size 0
		.amdhsa_kernarg_size 3648
		.amdhsa_user_sgpr_count 6
		.amdhsa_user_sgpr_private_segment_buffer 1
		.amdhsa_user_sgpr_dispatch_ptr 0
		.amdhsa_user_sgpr_queue_ptr 0
		.amdhsa_user_sgpr_kernarg_segment_ptr 1
		.amdhsa_user_sgpr_dispatch_id 0
		.amdhsa_user_sgpr_flat_scratch_init 0
		.amdhsa_user_sgpr_kernarg_preload_length 0
		.amdhsa_user_sgpr_kernarg_preload_offset 0
		.amdhsa_user_sgpr_private_segment_size 0
		.amdhsa_uses_dynamic_stack 0
		.amdhsa_system_sgpr_private_segment_wavefront_offset 0
		.amdhsa_system_sgpr_workgroup_id_x 1
		.amdhsa_system_sgpr_workgroup_id_y 0
		.amdhsa_system_sgpr_workgroup_id_z 0
		.amdhsa_system_sgpr_workgroup_info 0
		.amdhsa_system_vgpr_workitem_id 0
		.amdhsa_next_free_vgpr 22
		.amdhsa_next_free_sgpr 30
		.amdhsa_accum_offset 24
		.amdhsa_reserve_vcc 1
		.amdhsa_reserve_flat_scratch 0
		.amdhsa_float_round_mode_32 0
		.amdhsa_float_round_mode_16_64 0
		.amdhsa_float_denorm_mode_32 3
		.amdhsa_float_denorm_mode_16_64 3
		.amdhsa_dx10_clamp 1
		.amdhsa_ieee_mode 1
		.amdhsa_fp16_overflow 0
		.amdhsa_tg_split 0
		.amdhsa_exception_fp_ieee_invalid_op 0
		.amdhsa_exception_fp_denorm_src 0
		.amdhsa_exception_fp_ieee_div_zero 0
		.amdhsa_exception_fp_ieee_overflow 0
		.amdhsa_exception_fp_ieee_underflow 0
		.amdhsa_exception_fp_ieee_inexact 0
		.amdhsa_exception_int_div_zero 0
	.end_amdhsa_kernel
	.section	.text._ZN2at6native12_GLOBAL__N_125multi_tensor_apply_kernelINS1_18TensorListMetadataILi1EEENS1_27BinaryOpScalarTensorFunctorIN3c104HalfELi1ELi1ELi0EEEJSt10multipliesIfEPS7_fEEEvT_T0_DpT1_,"axG",@progbits,_ZN2at6native12_GLOBAL__N_125multi_tensor_apply_kernelINS1_18TensorListMetadataILi1EEENS1_27BinaryOpScalarTensorFunctorIN3c104HalfELi1ELi1ELi0EEEJSt10multipliesIfEPS7_fEEEvT_T0_DpT1_,comdat
.Lfunc_end34:
	.size	_ZN2at6native12_GLOBAL__N_125multi_tensor_apply_kernelINS1_18TensorListMetadataILi1EEENS1_27BinaryOpScalarTensorFunctorIN3c104HalfELi1ELi1ELi0EEEJSt10multipliesIfEPS7_fEEEvT_T0_DpT1_, .Lfunc_end34-_ZN2at6native12_GLOBAL__N_125multi_tensor_apply_kernelINS1_18TensorListMetadataILi1EEENS1_27BinaryOpScalarTensorFunctorIN3c104HalfELi1ELi1ELi0EEEJSt10multipliesIfEPS7_fEEEvT_T0_DpT1_
                                        ; -- End function
	.section	.AMDGPU.csdata,"",@progbits
; Kernel info:
; codeLenInByte = 1104
; NumSgprs: 34
; NumVgprs: 22
; NumAgprs: 0
; TotalNumVgprs: 22
; ScratchSize: 0
; MemoryBound: 0
; FloatMode: 240
; IeeeMode: 1
; LDSByteSize: 0 bytes/workgroup (compile time only)
; SGPRBlocks: 4
; VGPRBlocks: 2
; NumSGPRsForWavesPerEU: 34
; NumVGPRsForWavesPerEU: 22
; AccumOffset: 24
; Occupancy: 8
; WaveLimiterHint : 0
; COMPUTE_PGM_RSRC2:SCRATCH_EN: 0
; COMPUTE_PGM_RSRC2:USER_SGPR: 6
; COMPUTE_PGM_RSRC2:TRAP_HANDLER: 0
; COMPUTE_PGM_RSRC2:TGID_X_EN: 1
; COMPUTE_PGM_RSRC2:TGID_Y_EN: 0
; COMPUTE_PGM_RSRC2:TGID_Z_EN: 0
; COMPUTE_PGM_RSRC2:TIDIG_COMP_CNT: 0
; COMPUTE_PGM_RSRC3_GFX90A:ACCUM_OFFSET: 5
; COMPUTE_PGM_RSRC3_GFX90A:TG_SPLIT: 0
	.section	.text._ZN2at6native12_GLOBAL__N_125multi_tensor_apply_kernelINS1_18TensorListMetadataILi1EEENS1_27BinaryOpScalarTensorFunctorIN3c108BFloat16ELi1ELi1ELi0EEEJSt10multipliesIfEPS7_fEEEvT_T0_DpT1_,"axG",@progbits,_ZN2at6native12_GLOBAL__N_125multi_tensor_apply_kernelINS1_18TensorListMetadataILi1EEENS1_27BinaryOpScalarTensorFunctorIN3c108BFloat16ELi1ELi1ELi0EEEJSt10multipliesIfEPS7_fEEEvT_T0_DpT1_,comdat
	.globl	_ZN2at6native12_GLOBAL__N_125multi_tensor_apply_kernelINS1_18TensorListMetadataILi1EEENS1_27BinaryOpScalarTensorFunctorIN3c108BFloat16ELi1ELi1ELi0EEEJSt10multipliesIfEPS7_fEEEvT_T0_DpT1_ ; -- Begin function _ZN2at6native12_GLOBAL__N_125multi_tensor_apply_kernelINS1_18TensorListMetadataILi1EEENS1_27BinaryOpScalarTensorFunctorIN3c108BFloat16ELi1ELi1ELi0EEEJSt10multipliesIfEPS7_fEEEvT_T0_DpT1_
	.p2align	8
	.type	_ZN2at6native12_GLOBAL__N_125multi_tensor_apply_kernelINS1_18TensorListMetadataILi1EEENS1_27BinaryOpScalarTensorFunctorIN3c108BFloat16ELi1ELi1ELi0EEEJSt10multipliesIfEPS7_fEEEvT_T0_DpT1_,@function
_ZN2at6native12_GLOBAL__N_125multi_tensor_apply_kernelINS1_18TensorListMetadataILi1EEENS1_27BinaryOpScalarTensorFunctorIN3c108BFloat16ELi1ELi1ELi0EEEJSt10multipliesIfEPS7_fEEEvT_T0_DpT1_: ; @_ZN2at6native12_GLOBAL__N_125multi_tensor_apply_kernelINS1_18TensorListMetadataILi1EEENS1_27BinaryOpScalarTensorFunctorIN3c108BFloat16ELi1ELi1ELi0EEEJSt10multipliesIfEPS7_fEEEvT_T0_DpT1_
; %bb.0:
	v_mov_b32_e32 v1, s6
	global_load_ubyte v1, v1, s[4:5] offset:1760
	s_add_u32 s0, s4, s6
	s_mul_hi_u32 s1, s6, 3
	s_mul_i32 s6, s6, 3
	s_addc_u32 s2, s5, 0
	s_add_u32 s0, s0, s6
	s_addc_u32 s1, s2, s1
	s_load_dword s0, s[0:1], 0x820
	s_mov_b32 s7, 0
	s_load_dword s24, s[4:5], 0xd38
	s_waitcnt vmcnt(0)
	v_readfirstlane_b32 s1, v1
	s_lshl_b32 s1, s1, 3
	s_load_dwordx2 s[10:11], s[4:5], 0xd30
	s_load_dwordx2 s[2:3], s[4:5], s1 offset:0x370
	s_load_dwordx2 s[14:15], s[4:5], s1 offset:0x0
	s_waitcnt lgkmcnt(0)
	s_ashr_i32 s1, s0, 31
	s_lshl_b64 s[16:17], s[0:1], 17
	s_lshl_b64 s[0:1], s[0:1], 16
	s_and_b32 s6, s14, 7
	s_sub_u32 s12, s2, s0
	s_subb_u32 s13, s3, s1
	s_and_b32 s0, s2, 3
	s_mov_b32 s1, s7
	s_or_b64 s[0:1], s[6:7], s[0:1]
	s_cmp_eq_u64 s[0:1], 0
	s_cbranch_scc1 .LBB35_21
; %bb.1:
	v_cmp_lt_i64_e64 s[0:1], s[12:13], 1
	s_and_b64 vcc, exec, s[0:1]
	s_cbranch_vccnz .LBB35_20
; %bb.2:
	s_load_dword s0, s[4:5], 0xd4c
	v_mov_b32_e32 v2, 0x10000
	v_mov_b32_e32 v3, 0
	v_cmp_lt_u64_e32 vcc, s[12:13], v[2:3]
	v_lshlrev_b32_e32 v4, 1, v0
	s_waitcnt lgkmcnt(0)
	s_and_b32 s2, s0, 0xffff
	s_and_b64 s[0:1], vcc, exec
	s_cselect_b32 s19, s13, 0
	s_cselect_b32 s18, s12, 0x10000
	s_lshl_b32 s3, s2, 1
	s_lshl_b32 s26, s2, 2
	s_add_u32 s6, s14, s16
	s_addc_u32 s7, s15, s17
	v_mov_b32_e32 v5, s7
	v_add_co_u32_e32 v4, vcc, s6, v4
	s_mul_i32 s0, s2, 3
	v_addc_co_u32_e32 v5, vcc, 0, v5, vcc
	v_add_co_u32_e32 v10, vcc, s0, v0
	v_addc_co_u32_e64 v11, s[0:1], 0, 0, vcc
	v_add_co_u32_e32 v12, vcc, s3, v0
	v_addc_co_u32_e64 v13, s[0:1], 0, 0, vcc
	v_add_co_u32_e32 v14, vcc, s2, v0
	v_lshlrev_b32_e32 v6, 1, v14
	s_mov_b32 s25, 0
	v_addc_co_u32_e64 v15, s[0:1], 0, 0, vcc
	v_mov_b32_e32 v7, s7
	v_add_co_u32_e32 v6, vcc, s6, v6
	v_mov_b32_e32 v1, 0
	s_lshl_b32 s27, s2, 3
	s_mul_i32 s28, s2, 6
	s_mov_b32 s29, s25
	v_addc_co_u32_e32 v7, vcc, 0, v7, vcc
	s_mov_b64 s[20:21], 0
	s_movk_i32 s30, 0x7fff
	v_pk_mov_b32 v[8:9], s[12:13], s[12:13] op_sel:[0,1]
	v_mov_b32_e32 v16, s25
	v_mov_b32_e32 v17, 0x7fc0
	s_branch .LBB35_4
.LBB35_3:                               ;   in Loop: Header=BB35_4 Depth=1
	s_or_b64 exec, exec, s[0:1]
	s_add_u32 s20, s20, s26
	s_addc_u32 s21, s21, 0
	v_cmp_lt_i64_e32 vcc, s[20:21], v[8:9]
	v_cmp_lt_u64_e64 s[0:1], s[20:21], v[2:3]
	s_and_b64 s[0:1], vcc, s[0:1]
	v_add_co_u32_e32 v4, vcc, s27, v4
	v_addc_co_u32_e32 v5, vcc, v5, v16, vcc
	v_add_co_u32_e32 v6, vcc, s27, v6
	v_addc_co_u32_e32 v7, vcc, v7, v16, vcc
	s_and_b64 vcc, exec, s[0:1]
	s_cbranch_vccz .LBB35_20
.LBB35_4:                               ; =>This Inner Loop Header: Depth=1
	v_mov_b32_e32 v19, s21
	v_add_co_u32_e32 v18, vcc, s20, v0
	v_addc_co_u32_e32 v19, vcc, 0, v19, vcc
	v_cmp_gt_u64_e32 vcc, s[18:19], v[18:19]
	v_mov_b32_e32 v19, 0
	s_and_saveexec_b64 s[0:1], vcc
	s_cbranch_execz .LBB35_6
; %bb.5:                                ;   in Loop: Header=BB35_4 Depth=1
	global_load_ushort v19, v[4:5], off
.LBB35_6:                               ;   in Loop: Header=BB35_4 Depth=1
	s_or_b64 exec, exec, s[0:1]
	v_mov_b32_e32 v18, s21
	v_add_co_u32_e64 v20, s[0:1], s20, v14
	v_addc_co_u32_e64 v21, s[0:1], v15, v18, s[0:1]
	v_cmp_gt_u64_e64 s[0:1], s[18:19], v[20:21]
	v_mov_b32_e32 v18, 0
	v_mov_b32_e32 v20, 0
	s_and_saveexec_b64 s[2:3], s[0:1]
	s_cbranch_execz .LBB35_8
; %bb.7:                                ;   in Loop: Header=BB35_4 Depth=1
	global_load_ushort v20, v[6:7], off
.LBB35_8:                               ;   in Loop: Header=BB35_4 Depth=1
	s_or_b64 exec, exec, s[2:3]
	v_mov_b32_e32 v21, s21
	v_add_co_u32_e64 v22, s[2:3], s20, v12
	v_addc_co_u32_e64 v23, s[2:3], v13, v21, s[2:3]
	v_cmp_gt_u64_e64 s[2:3], s[18:19], v[22:23]
	s_and_saveexec_b64 s[8:9], s[2:3]
	s_cbranch_execz .LBB35_10
; %bb.9:                                ;   in Loop: Header=BB35_4 Depth=1
	v_mov_b32_e32 v18, s25
	v_add_co_u32_e64 v22, s[6:7], s26, v4
	v_addc_co_u32_e64 v23, s[6:7], v5, v18, s[6:7]
	global_load_ushort v18, v[22:23], off
.LBB35_10:                              ;   in Loop: Header=BB35_4 Depth=1
	s_or_b64 exec, exec, s[8:9]
	v_mov_b32_e32 v21, s21
	v_add_co_u32_e64 v22, s[6:7], s20, v10
	v_addc_co_u32_e64 v23, s[6:7], v11, v21, s[6:7]
	v_cmp_gt_u64_e64 s[6:7], s[18:19], v[22:23]
	v_mov_b32_e32 v21, 0
	s_and_saveexec_b64 s[22:23], s[6:7]
	s_cbranch_execz .LBB35_12
; %bb.11:                               ;   in Loop: Header=BB35_4 Depth=1
	v_mov_b32_e32 v21, s29
	v_add_co_u32_e64 v22, s[8:9], s28, v4
	v_addc_co_u32_e64 v23, s[8:9], v5, v21, s[8:9]
	global_load_ushort v21, v[22:23], off
.LBB35_12:                              ;   in Loop: Header=BB35_4 Depth=1
	s_or_b64 exec, exec, s[22:23]
	global_load_ushort v22, v1, s[10:11]
	s_waitcnt vmcnt(0)
	v_lshlrev_b32_e32 v22, 16, v22
	v_mul_f32_e32 v22, s24, v22
	s_and_saveexec_b64 s[8:9], vcc
	s_cbranch_execnz .LBB35_16
; %bb.13:                               ;   in Loop: Header=BB35_4 Depth=1
	s_or_b64 exec, exec, s[8:9]
	s_and_saveexec_b64 s[8:9], s[0:1]
	s_cbranch_execnz .LBB35_17
.LBB35_14:                              ;   in Loop: Header=BB35_4 Depth=1
	s_or_b64 exec, exec, s[8:9]
	s_and_saveexec_b64 s[0:1], s[2:3]
	s_cbranch_execnz .LBB35_18
.LBB35_15:                              ;   in Loop: Header=BB35_4 Depth=1
	s_or_b64 exec, exec, s[0:1]
	s_and_saveexec_b64 s[0:1], s[6:7]
	s_cbranch_execz .LBB35_3
	s_branch .LBB35_19
.LBB35_16:                              ;   in Loop: Header=BB35_4 Depth=1
	v_lshlrev_b32_e32 v19, 16, v19
	v_mul_f32_e32 v19, v22, v19
	v_bfe_u32 v23, v19, 16, 1
	v_add3_u32 v23, v19, v23, s30
	v_lshrrev_b32_e32 v23, 16, v23
	v_cmp_o_f32_e32 vcc, v19, v19
	v_cndmask_b32_e32 v19, v17, v23, vcc
	global_store_short v[4:5], v19, off
	s_or_b64 exec, exec, s[8:9]
	s_and_saveexec_b64 s[8:9], s[0:1]
	s_cbranch_execz .LBB35_14
.LBB35_17:                              ;   in Loop: Header=BB35_4 Depth=1
	v_lshlrev_b32_e32 v19, 16, v20
	v_mul_f32_e32 v19, v22, v19
	v_bfe_u32 v20, v19, 16, 1
	v_add3_u32 v20, v19, v20, s30
	v_lshrrev_b32_e32 v20, 16, v20
	v_cmp_o_f32_e32 vcc, v19, v19
	v_cndmask_b32_e32 v19, v17, v20, vcc
	global_store_short v[6:7], v19, off
	s_or_b64 exec, exec, s[8:9]
	s_and_saveexec_b64 s[0:1], s[2:3]
	s_cbranch_execz .LBB35_15
.LBB35_18:                              ;   in Loop: Header=BB35_4 Depth=1
	v_lshlrev_b32_e32 v18, 16, v18
	v_mul_f32_e32 v18, v22, v18
	v_bfe_u32 v19, v18, 16, 1
	v_add3_u32 v19, v18, v19, s30
	v_lshrrev_b32_e32 v19, 16, v19
	v_cmp_o_f32_e32 vcc, v18, v18
	v_cndmask_b32_e32 v20, v17, v19, vcc
	v_mov_b32_e32 v19, s25
	v_add_co_u32_e32 v18, vcc, s26, v4
	v_addc_co_u32_e32 v19, vcc, v5, v19, vcc
	global_store_short v[18:19], v20, off
	s_or_b64 exec, exec, s[0:1]
	s_and_saveexec_b64 s[0:1], s[6:7]
	s_cbranch_execz .LBB35_3
.LBB35_19:                              ;   in Loop: Header=BB35_4 Depth=1
	v_lshlrev_b32_e32 v18, 16, v21
	v_mul_f32_e32 v18, v22, v18
	v_bfe_u32 v19, v18, 16, 1
	v_add3_u32 v19, v18, v19, s30
	v_lshrrev_b32_e32 v19, 16, v19
	v_cmp_o_f32_e32 vcc, v18, v18
	v_cndmask_b32_e32 v20, v17, v19, vcc
	v_mov_b32_e32 v19, s29
	v_add_co_u32_e32 v18, vcc, s28, v4
	v_addc_co_u32_e32 v19, vcc, v5, v19, vcc
	global_store_short v[18:19], v20, off
	s_branch .LBB35_3
.LBB35_20:
	s_cbranch_execz .LBB35_22
	s_branch .LBB35_25
.LBB35_21:
.LBB35_22:
	v_mov_b32_e32 v3, 0
	v_lshlrev_b32_e32 v2, 2, v0
	s_mov_b32 s0, 0
	v_cmp_gt_i64_e32 vcc, s[12:13], v[2:3]
	s_and_saveexec_b64 s[2:3], vcc
	s_cbranch_execz .LBB35_25
; %bb.23:
	s_load_dword s1, s[4:5], 0xd4c
	v_lshlrev_b32_e32 v1, 3, v0
	s_movk_i32 s8, 0x7fff
	v_mov_b32_e32 v6, 0x7fc00000
	v_mov_b32_e32 v7, 0x7fc0
	s_waitcnt lgkmcnt(0)
	s_and_b32 s1, s1, 0xffff
	s_add_u32 s2, s14, s16
	s_addc_u32 s3, s15, s17
	v_mov_b32_e32 v2, s3
	v_add_co_u32_e32 v4, vcc, s2, v1
	v_addc_co_u32_e32 v5, vcc, 0, v2, vcc
	v_add_lshl_u32 v2, v0, s1, 2
	s_lshl_b32 s6, s1, 3
	s_lshl_b32 s7, s1, 2
	s_mov_b64 s[2:3], 0
	s_mov_b64 s[4:5], 0xffff
	v_mov_b32_e32 v8, s0
	v_mov_b32_e32 v9, s0
	v_pk_mov_b32 v[0:1], v[2:3], v[2:3] op_sel:[0,1]
.LBB35_24:                              ; =>This Inner Loop Header: Depth=1
	global_load_dwordx2 v[10:11], v[4:5], off
	global_load_ushort v2, v3, s[10:11]
	v_cmp_le_i64_e32 vcc, s[12:13], v[0:1]
	v_cmp_lt_u64_e64 s[0:1], s[4:5], v[0:1]
	s_or_b64 s[0:1], vcc, s[0:1]
	s_and_b64 s[0:1], exec, s[0:1]
	s_or_b64 s[2:3], s[0:1], s[2:3]
	s_waitcnt vmcnt(1)
	v_and_b32_e32 v12, 0xffff0000, v10
	s_waitcnt vmcnt(0)
	v_lshlrev_b32_e32 v2, 16, v2
	v_lshlrev_b32_e32 v13, 16, v10
	v_alignbit_b32 v10, v11, v10, 16
	v_and_b32_e32 v11, 0xffff0000, v11
	v_mul_f32_e32 v2, s24, v2
	v_and_b32_e32 v10, 0xffff0000, v10
	v_mul_f32_e32 v13, v2, v13
	v_mul_f32_e32 v12, v2, v12
	;; [unrolled: 1-line block ×4, first 2 shown]
	v_bfe_u32 v16, v2, 16, 1
	v_bfe_u32 v15, v10, 16, 1
	v_add3_u32 v16, v2, v16, s8
	v_bfe_u32 v14, v12, 16, 1
	v_add3_u32 v15, v10, v15, s8
	v_and_b32_e32 v16, 0xffff0000, v16
	v_cmp_o_f32_e32 vcc, v2, v2
	v_bfe_u32 v11, v13, 16, 1
	v_add3_u32 v14, v12, v14, s8
	v_lshrrev_b32_e32 v15, 16, v15
	v_cndmask_b32_e32 v2, v6, v16, vcc
	v_cmp_o_f32_e32 vcc, v10, v10
	v_add3_u32 v11, v13, v11, s8
	v_and_b32_e32 v14, 0xffff0000, v14
	v_cndmask_b32_e32 v10, v7, v15, vcc
	v_cmp_o_f32_e32 vcc, v12, v12
	v_lshrrev_b32_e32 v11, 16, v11
	v_cndmask_b32_e32 v12, v6, v14, vcc
	v_cmp_o_f32_e32 vcc, v13, v13
	v_cndmask_b32_e32 v11, v7, v11, vcc
	v_or_b32_e32 v12, v11, v12
	v_or3_b32 v11, 0, v10, v2
	v_or3_b32 v10, v12, 0, 0
	global_store_dwordx2 v[4:5], v[10:11], off
	v_add_co_u32_e32 v4, vcc, s6, v4
	v_addc_co_u32_e32 v5, vcc, v5, v8, vcc
	v_add_co_u32_e32 v0, vcc, s7, v0
	v_addc_co_u32_e32 v1, vcc, v1, v9, vcc
	s_andn2_b64 exec, exec, s[2:3]
	s_cbranch_execnz .LBB35_24
.LBB35_25:
	s_endpgm
	.section	.rodata,"a",@progbits
	.p2align	6, 0x0
	.amdhsa_kernel _ZN2at6native12_GLOBAL__N_125multi_tensor_apply_kernelINS1_18TensorListMetadataILi1EEENS1_27BinaryOpScalarTensorFunctorIN3c108BFloat16ELi1ELi1ELi0EEEJSt10multipliesIfEPS7_fEEEvT_T0_DpT1_
		.amdhsa_group_segment_fixed_size 0
		.amdhsa_private_segment_fixed_size 0
		.amdhsa_kernarg_size 3648
		.amdhsa_user_sgpr_count 6
		.amdhsa_user_sgpr_private_segment_buffer 1
		.amdhsa_user_sgpr_dispatch_ptr 0
		.amdhsa_user_sgpr_queue_ptr 0
		.amdhsa_user_sgpr_kernarg_segment_ptr 1
		.amdhsa_user_sgpr_dispatch_id 0
		.amdhsa_user_sgpr_flat_scratch_init 0
		.amdhsa_user_sgpr_kernarg_preload_length 0
		.amdhsa_user_sgpr_kernarg_preload_offset 0
		.amdhsa_user_sgpr_private_segment_size 0
		.amdhsa_uses_dynamic_stack 0
		.amdhsa_system_sgpr_private_segment_wavefront_offset 0
		.amdhsa_system_sgpr_workgroup_id_x 1
		.amdhsa_system_sgpr_workgroup_id_y 0
		.amdhsa_system_sgpr_workgroup_id_z 0
		.amdhsa_system_sgpr_workgroup_info 0
		.amdhsa_system_vgpr_workitem_id 0
		.amdhsa_next_free_vgpr 24
		.amdhsa_next_free_sgpr 31
		.amdhsa_accum_offset 24
		.amdhsa_reserve_vcc 1
		.amdhsa_reserve_flat_scratch 0
		.amdhsa_float_round_mode_32 0
		.amdhsa_float_round_mode_16_64 0
		.amdhsa_float_denorm_mode_32 3
		.amdhsa_float_denorm_mode_16_64 3
		.amdhsa_dx10_clamp 1
		.amdhsa_ieee_mode 1
		.amdhsa_fp16_overflow 0
		.amdhsa_tg_split 0
		.amdhsa_exception_fp_ieee_invalid_op 0
		.amdhsa_exception_fp_denorm_src 0
		.amdhsa_exception_fp_ieee_div_zero 0
		.amdhsa_exception_fp_ieee_overflow 0
		.amdhsa_exception_fp_ieee_underflow 0
		.amdhsa_exception_fp_ieee_inexact 0
		.amdhsa_exception_int_div_zero 0
	.end_amdhsa_kernel
	.section	.text._ZN2at6native12_GLOBAL__N_125multi_tensor_apply_kernelINS1_18TensorListMetadataILi1EEENS1_27BinaryOpScalarTensorFunctorIN3c108BFloat16ELi1ELi1ELi0EEEJSt10multipliesIfEPS7_fEEEvT_T0_DpT1_,"axG",@progbits,_ZN2at6native12_GLOBAL__N_125multi_tensor_apply_kernelINS1_18TensorListMetadataILi1EEENS1_27BinaryOpScalarTensorFunctorIN3c108BFloat16ELi1ELi1ELi0EEEJSt10multipliesIfEPS7_fEEEvT_T0_DpT1_,comdat
.Lfunc_end35:
	.size	_ZN2at6native12_GLOBAL__N_125multi_tensor_apply_kernelINS1_18TensorListMetadataILi1EEENS1_27BinaryOpScalarTensorFunctorIN3c108BFloat16ELi1ELi1ELi0EEEJSt10multipliesIfEPS7_fEEEvT_T0_DpT1_, .Lfunc_end35-_ZN2at6native12_GLOBAL__N_125multi_tensor_apply_kernelINS1_18TensorListMetadataILi1EEENS1_27BinaryOpScalarTensorFunctorIN3c108BFloat16ELi1ELi1ELi0EEEJSt10multipliesIfEPS7_fEEEvT_T0_DpT1_
                                        ; -- End function
	.section	.AMDGPU.csdata,"",@progbits
; Kernel info:
; codeLenInByte = 1368
; NumSgprs: 35
; NumVgprs: 24
; NumAgprs: 0
; TotalNumVgprs: 24
; ScratchSize: 0
; MemoryBound: 0
; FloatMode: 240
; IeeeMode: 1
; LDSByteSize: 0 bytes/workgroup (compile time only)
; SGPRBlocks: 4
; VGPRBlocks: 2
; NumSGPRsForWavesPerEU: 35
; NumVGPRsForWavesPerEU: 24
; AccumOffset: 24
; Occupancy: 8
; WaveLimiterHint : 0
; COMPUTE_PGM_RSRC2:SCRATCH_EN: 0
; COMPUTE_PGM_RSRC2:USER_SGPR: 6
; COMPUTE_PGM_RSRC2:TRAP_HANDLER: 0
; COMPUTE_PGM_RSRC2:TGID_X_EN: 1
; COMPUTE_PGM_RSRC2:TGID_Y_EN: 0
; COMPUTE_PGM_RSRC2:TGID_Z_EN: 0
; COMPUTE_PGM_RSRC2:TIDIG_COMP_CNT: 0
; COMPUTE_PGM_RSRC3_GFX90A:ACCUM_OFFSET: 5
; COMPUTE_PGM_RSRC3_GFX90A:TG_SPLIT: 0
	.section	.text._ZN2at6native12_GLOBAL__N_125multi_tensor_apply_kernelINS1_18TensorListMetadataILi2EEENS1_27BinaryOpScalarTensorFunctorIhLi2ELi1ELi1EEEJSt10multipliesIhEPhhEEEvT_T0_DpT1_,"axG",@progbits,_ZN2at6native12_GLOBAL__N_125multi_tensor_apply_kernelINS1_18TensorListMetadataILi2EEENS1_27BinaryOpScalarTensorFunctorIhLi2ELi1ELi1EEEJSt10multipliesIhEPhhEEEvT_T0_DpT1_,comdat
	.globl	_ZN2at6native12_GLOBAL__N_125multi_tensor_apply_kernelINS1_18TensorListMetadataILi2EEENS1_27BinaryOpScalarTensorFunctorIhLi2ELi1ELi1EEEJSt10multipliesIhEPhhEEEvT_T0_DpT1_ ; -- Begin function _ZN2at6native12_GLOBAL__N_125multi_tensor_apply_kernelINS1_18TensorListMetadataILi2EEENS1_27BinaryOpScalarTensorFunctorIhLi2ELi1ELi1EEEJSt10multipliesIhEPhhEEEvT_T0_DpT1_
	.p2align	8
	.type	_ZN2at6native12_GLOBAL__N_125multi_tensor_apply_kernelINS1_18TensorListMetadataILi2EEENS1_27BinaryOpScalarTensorFunctorIhLi2ELi1ELi1EEEJSt10multipliesIhEPhhEEEvT_T0_DpT1_,@function
_ZN2at6native12_GLOBAL__N_125multi_tensor_apply_kernelINS1_18TensorListMetadataILi2EEENS1_27BinaryOpScalarTensorFunctorIhLi2ELi1ELi1EEEJSt10multipliesIhEPhhEEEvT_T0_DpT1_: ; @_ZN2at6native12_GLOBAL__N_125multi_tensor_apply_kernelINS1_18TensorListMetadataILi2EEENS1_27BinaryOpScalarTensorFunctorIhLi2ELi1ELi1EEEJSt10multipliesIhEPhhEEEvT_T0_DpT1_
; %bb.0:
	v_mov_b32_e32 v1, s6
	global_load_ubyte v1, v1, s[4:5] offset:1536
	s_add_u32 s0, s4, s6
	s_mul_hi_u32 s1, s6, 3
	s_mul_i32 s6, s6, 3
	s_addc_u32 s2, s5, 0
	s_add_u32 s0, s0, s6
	s_addc_u32 s1, s2, s1
	s_load_dword s0, s[0:1], 0x740
	s_waitcnt vmcnt(0)
	v_readfirstlane_b32 s1, v1
	s_load_dword s22, s[4:5], 0xc58
	s_lshl_b32 s1, s1, 3
	s_load_dwordx2 s[2:3], s[4:5], s1 offset:0x0
	s_load_dwordx2 s[8:9], s[4:5], 0xc50
	s_load_dwordx2 s[14:15], s[4:5], s1 offset:0x400
	s_load_dwordx2 s[6:7], s[4:5], s1 offset:0x200
	s_waitcnt lgkmcnt(0)
	s_ashr_i32 s1, s0, 31
	s_lshl_b64 s[12:13], s[0:1], 16
	s_add_u32 s10, s2, s12
	s_addc_u32 s11, s3, s13
	s_add_u32 s23, s6, s12
	s_addc_u32 s20, s7, s13
	s_or_b64 s[0:1], s[14:15], s[10:11]
	s_or_b32 s0, s23, s0
	s_and_b32 s0, s0, 3
	s_sub_u32 s14, s14, s12
	s_subb_u32 s15, s15, s13
	s_cmp_eq_u32 s0, 0
	s_mov_b64 s[0:1], -1
	s_cbranch_scc0 .LBB36_5
; %bb.1:
	v_lshlrev_b32_e32 v2, 2, v0
	v_mov_b32_e32 v3, 0
	v_cmp_gt_i64_e32 vcc, s[14:15], v[2:3]
	s_and_saveexec_b64 s[16:17], vcc
	s_cbranch_execz .LBB36_4
; %bb.2:
	s_load_dword s0, s[4:5], 0xc6c
	s_mov_b32 s1, 0
	s_and_b32 s24, s22, 0xff
	s_mov_b64 s[18:19], 0
	v_mov_b32_e32 v1, s11
	s_waitcnt lgkmcnt(0)
	s_and_b32 s0, s0, 0xffff
	s_lshl_b32 s11, s0, 2
	v_mov_b32_e32 v6, s20
	v_mov_b32_e32 v7, s1
	s_mov_b64 s[20:21], 0xffff
	v_mov_b32_e32 v8, 8
	v_pk_mov_b32 v[4:5], v[2:3], v[2:3] op_sel:[0,1]
.LBB36_3:                               ; =>This Inner Loop Header: Depth=1
	v_add_co_u32_e32 v10, vcc, s10, v4
	v_addc_co_u32_e32 v11, vcc, v1, v5, vcc
	global_load_ubyte v2, v3, s[8:9]
	global_load_dword v9, v[10:11], off
	v_add_co_u32_e32 v10, vcc, s23, v4
	v_addc_co_u32_e32 v11, vcc, v6, v5, vcc
	v_add_co_u32_e32 v4, vcc, s11, v4
	v_addc_co_u32_e32 v5, vcc, v7, v5, vcc
	v_cmp_le_i64_e32 vcc, s[14:15], v[4:5]
	v_cmp_lt_u64_e64 s[0:1], s[20:21], v[4:5]
	s_or_b64 s[0:1], vcc, s[0:1]
	s_and_b64 s[0:1], exec, s[0:1]
	s_or_b64 s[18:19], s[0:1], s[18:19]
	s_waitcnt vmcnt(1)
	v_mul_lo_u32 v2, v2, s24
	s_waitcnt vmcnt(0)
	v_lshrrev_b32_e32 v12, 8, v9
	v_mul_lo_u16_sdwa v14, v2, v9 dst_sel:DWORD dst_unused:UNUSED_PAD src0_sel:DWORD src1_sel:WORD_1
	v_mul_lo_u16_e32 v13, v2, v9
	v_mul_lo_u16_sdwa v9, v2, v9 dst_sel:DWORD dst_unused:UNUSED_PAD src0_sel:DWORD src1_sel:BYTE_3
	v_mul_lo_u16_e32 v2, v2, v12
	v_and_b32_e32 v12, 0xff, v14
	v_lshlrev_b32_e32 v12, 16, v12
	v_and_b32_e32 v13, 0xff, v13
	v_lshlrev_b32_sdwa v2, v8, v2 dst_sel:DWORD dst_unused:UNUSED_PAD src0_sel:DWORD src1_sel:BYTE_0
	v_lshl_or_b32 v9, v9, 24, v12
	v_or3_b32 v2, v9, v2, v13
	global_store_dword v[10:11], v2, off
	s_andn2_b64 exec, exec, s[18:19]
	s_cbranch_execnz .LBB36_3
.LBB36_4:
	s_or_b64 exec, exec, s[16:17]
	s_mov_b64 s[0:1], 0
.LBB36_5:
	s_andn2_b64 vcc, exec, s[0:1]
	s_cbranch_vccnz .LBB36_25
; %bb.6:
	v_cmp_lt_i64_e64 s[0:1], s[14:15], 1
	s_and_b64 vcc, exec, s[0:1]
	s_cbranch_vccnz .LBB36_25
; %bb.7:
	s_load_dword s0, s[4:5], 0xc6c
	v_mov_b32_e32 v2, 0x10000
	v_mov_b32_e32 v3, 0
	v_cmp_lt_u64_e32 vcc, s[14:15], v[2:3]
	v_mov_b32_e32 v2, s13
	s_waitcnt lgkmcnt(0)
	s_and_b32 s4, s0, 0xffff
	s_and_b64 s[0:1], vcc, exec
	v_add_co_u32_e32 v3, vcc, s12, v0
	v_addc_co_u32_e32 v2, vcc, 0, v2, vcc
	v_mov_b32_e32 v21, s3
	v_add_co_u32_e32 v4, vcc, s2, v3
	s_cselect_b32 s11, s15, 0
	s_cselect_b32 s10, s14, 0x10000
	s_lshl_b32 s5, s4, 1
	s_mul_i32 s0, s4, 3
	s_lshl_b32 s16, s4, 2
	s_and_b32 s17, s22, 0xff
	v_addc_co_u32_e32 v5, vcc, v21, v2, vcc
	v_mov_b32_e32 v23, s7
	v_add_co_u32_e32 v6, vcc, s6, v3
	s_add_u32 s1, s12, s0
	v_addc_co_u32_e32 v7, vcc, v23, v2, vcc
	s_addc_u32 s3, s13, 0
	v_mov_b32_e32 v8, s3
	v_add_co_u32_e32 v10, vcc, s1, v0
	v_addc_co_u32_e32 v11, vcc, 0, v8, vcc
	v_add_co_u32_e32 v8, vcc, s2, v10
	v_addc_co_u32_e32 v9, vcc, v21, v11, vcc
	;; [unrolled: 2-line block ×3, first 2 shown]
	v_add_co_u32_e32 v12, vcc, s0, v0
	v_addc_co_u32_e64 v13, s[0:1], 0, 0, vcc
	s_add_u32 s0, s12, s5
	s_addc_u32 s1, s13, 0
	v_mov_b32_e32 v14, s1
	v_add_co_u32_e32 v16, vcc, s0, v0
	v_addc_co_u32_e32 v17, vcc, 0, v14, vcc
	v_add_co_u32_e32 v14, vcc, s2, v16
	v_addc_co_u32_e32 v15, vcc, v21, v17, vcc
	;; [unrolled: 2-line block ×3, first 2 shown]
	v_add_co_u32_e32 v18, vcc, s5, v0
	v_addc_co_u32_e64 v19, s[0:1], 0, 0, vcc
	v_add_co_u32_e32 v3, vcc, s4, v3
	v_addc_co_u32_e32 v2, vcc, 0, v2, vcc
	v_add_co_u32_e32 v20, vcc, s2, v3
	v_addc_co_u32_e32 v21, vcc, v21, v2, vcc
	;; [unrolled: 2-line block ×3, first 2 shown]
	v_add_co_u32_e32 v24, vcc, s4, v0
	v_mov_b32_e32 v1, 0
	v_addc_co_u32_e64 v25, s[0:1], 0, 0, vcc
	s_mov_b64 s[12:13], 0
	v_pk_mov_b32 v[2:3], s[14:15], s[14:15] op_sel:[0,1]
	s_branch .LBB36_9
.LBB36_8:                               ;   in Loop: Header=BB36_9 Depth=1
	s_or_b64 exec, exec, s[0:1]
	s_add_u32 s12, s12, s16
	v_mov_b32_e32 v26, 0xffff
	s_addc_u32 s13, s13, 0
	v_mov_b32_e32 v27, 0
	v_cmp_ge_i64_e32 vcc, s[12:13], v[2:3]
	v_cmp_gt_u64_e64 s[0:1], s[12:13], v[26:27]
	s_or_b64 s[0:1], vcc, s[0:1]
	s_and_b64 vcc, exec, s[0:1]
	s_cbranch_vccnz .LBB36_25
.LBB36_9:                               ; =>This Inner Loop Header: Depth=1
	v_mov_b32_e32 v27, s13
	v_add_co_u32_e32 v26, vcc, s12, v0
	v_addc_co_u32_e32 v27, vcc, 0, v27, vcc
	v_cmp_gt_u64_e32 vcc, s[10:11], v[26:27]
	v_mov_b32_e32 v27, 0
	s_and_saveexec_b64 s[2:3], vcc
	s_cbranch_execz .LBB36_11
; %bb.10:                               ;   in Loop: Header=BB36_9 Depth=1
	v_mov_b32_e32 v27, s13
	v_add_co_u32_e64 v26, s[0:1], s12, v4
	v_addc_co_u32_e64 v27, s[0:1], v5, v27, s[0:1]
	global_load_ubyte v27, v[26:27], off
.LBB36_11:                              ;   in Loop: Header=BB36_9 Depth=1
	s_or_b64 exec, exec, s[2:3]
	v_mov_b32_e32 v26, s13
	v_add_co_u32_e64 v28, s[0:1], s12, v24
	v_addc_co_u32_e64 v29, s[0:1], v25, v26, s[0:1]
	v_cmp_gt_u64_e64 s[0:1], s[10:11], v[28:29]
	v_mov_b32_e32 v26, 0
	v_mov_b32_e32 v28, 0
	s_and_saveexec_b64 s[4:5], s[0:1]
	s_cbranch_execz .LBB36_13
; %bb.12:                               ;   in Loop: Header=BB36_9 Depth=1
	v_mov_b32_e32 v29, s13
	v_add_co_u32_e64 v28, s[2:3], s12, v20
	v_addc_co_u32_e64 v29, s[2:3], v21, v29, s[2:3]
	global_load_ubyte v28, v[28:29], off
.LBB36_13:                              ;   in Loop: Header=BB36_9 Depth=1
	s_or_b64 exec, exec, s[4:5]
	v_mov_b32_e32 v29, s13
	v_add_co_u32_e64 v30, s[2:3], s12, v18
	v_addc_co_u32_e64 v31, s[2:3], v19, v29, s[2:3]
	v_cmp_gt_u64_e64 s[2:3], s[10:11], v[30:31]
	s_and_saveexec_b64 s[6:7], s[2:3]
	s_cbranch_execz .LBB36_15
; %bb.14:                               ;   in Loop: Header=BB36_9 Depth=1
	v_mov_b32_e32 v26, s13
	v_add_co_u32_e64 v30, s[4:5], s12, v14
	v_addc_co_u32_e64 v31, s[4:5], v15, v26, s[4:5]
	global_load_ubyte v26, v[30:31], off
.LBB36_15:                              ;   in Loop: Header=BB36_9 Depth=1
	s_or_b64 exec, exec, s[6:7]
	v_mov_b32_e32 v29, s13
	v_add_co_u32_e64 v30, s[4:5], s12, v12
	v_addc_co_u32_e64 v31, s[4:5], v13, v29, s[4:5]
	v_cmp_gt_u64_e64 s[4:5], s[10:11], v[30:31]
	v_mov_b32_e32 v29, 0
	s_and_saveexec_b64 s[14:15], s[4:5]
	s_cbranch_execz .LBB36_17
; %bb.16:                               ;   in Loop: Header=BB36_9 Depth=1
	v_mov_b32_e32 v29, s13
	v_add_co_u32_e64 v30, s[6:7], s12, v8
	v_addc_co_u32_e64 v31, s[6:7], v9, v29, s[6:7]
	global_load_ubyte v29, v[30:31], off
.LBB36_17:                              ;   in Loop: Header=BB36_9 Depth=1
	s_or_b64 exec, exec, s[14:15]
	global_load_ubyte v30, v1, s[8:9]
	s_waitcnt vmcnt(0)
	v_mul_lo_u32 v30, v30, s17
	s_and_saveexec_b64 s[6:7], vcc
	s_cbranch_execnz .LBB36_21
; %bb.18:                               ;   in Loop: Header=BB36_9 Depth=1
	s_or_b64 exec, exec, s[6:7]
	s_and_saveexec_b64 s[6:7], s[0:1]
	s_cbranch_execnz .LBB36_22
.LBB36_19:                              ;   in Loop: Header=BB36_9 Depth=1
	s_or_b64 exec, exec, s[6:7]
	s_and_saveexec_b64 s[0:1], s[2:3]
	s_cbranch_execnz .LBB36_23
.LBB36_20:                              ;   in Loop: Header=BB36_9 Depth=1
	s_or_b64 exec, exec, s[0:1]
	s_and_saveexec_b64 s[0:1], s[4:5]
	s_cbranch_execz .LBB36_8
	s_branch .LBB36_24
.LBB36_21:                              ;   in Loop: Header=BB36_9 Depth=1
	v_mov_b32_e32 v31, s13
	v_add_co_u32_e32 v32, vcc, s12, v6
	v_addc_co_u32_e32 v33, vcc, v7, v31, vcc
	v_mul_lo_u16_e32 v27, v30, v27
	global_store_byte v[32:33], v27, off
	s_or_b64 exec, exec, s[6:7]
	s_and_saveexec_b64 s[6:7], s[0:1]
	s_cbranch_execz .LBB36_19
.LBB36_22:                              ;   in Loop: Header=BB36_9 Depth=1
	v_mul_lo_u16_e32 v27, v30, v28
	v_mov_b32_e32 v28, s13
	v_add_co_u32_e32 v32, vcc, s12, v22
	v_addc_co_u32_e32 v33, vcc, v23, v28, vcc
	global_store_byte v[32:33], v27, off
	s_or_b64 exec, exec, s[6:7]
	s_and_saveexec_b64 s[0:1], s[2:3]
	s_cbranch_execz .LBB36_20
.LBB36_23:                              ;   in Loop: Header=BB36_9 Depth=1
	v_mul_lo_u16_e32 v28, v30, v26
	v_mov_b32_e32 v27, s13
	v_add_co_u32_e32 v26, vcc, s12, v16
	v_addc_co_u32_e32 v27, vcc, v17, v27, vcc
	global_store_byte v[26:27], v28, off
	s_or_b64 exec, exec, s[0:1]
	s_and_saveexec_b64 s[0:1], s[4:5]
	s_cbranch_execz .LBB36_8
.LBB36_24:                              ;   in Loop: Header=BB36_9 Depth=1
	v_mov_b32_e32 v27, s13
	v_add_co_u32_e32 v26, vcc, s12, v10
	v_mul_lo_u16_e32 v28, v30, v29
	v_addc_co_u32_e32 v27, vcc, v11, v27, vcc
	global_store_byte v[26:27], v28, off
	s_branch .LBB36_8
.LBB36_25:
	s_endpgm
	.section	.rodata,"a",@progbits
	.p2align	6, 0x0
	.amdhsa_kernel _ZN2at6native12_GLOBAL__N_125multi_tensor_apply_kernelINS1_18TensorListMetadataILi2EEENS1_27BinaryOpScalarTensorFunctorIhLi2ELi1ELi1EEEJSt10multipliesIhEPhhEEEvT_T0_DpT1_
		.amdhsa_group_segment_fixed_size 0
		.amdhsa_private_segment_fixed_size 0
		.amdhsa_kernarg_size 3424
		.amdhsa_user_sgpr_count 6
		.amdhsa_user_sgpr_private_segment_buffer 1
		.amdhsa_user_sgpr_dispatch_ptr 0
		.amdhsa_user_sgpr_queue_ptr 0
		.amdhsa_user_sgpr_kernarg_segment_ptr 1
		.amdhsa_user_sgpr_dispatch_id 0
		.amdhsa_user_sgpr_flat_scratch_init 0
		.amdhsa_user_sgpr_kernarg_preload_length 0
		.amdhsa_user_sgpr_kernarg_preload_offset 0
		.amdhsa_user_sgpr_private_segment_size 0
		.amdhsa_uses_dynamic_stack 0
		.amdhsa_system_sgpr_private_segment_wavefront_offset 0
		.amdhsa_system_sgpr_workgroup_id_x 1
		.amdhsa_system_sgpr_workgroup_id_y 0
		.amdhsa_system_sgpr_workgroup_id_z 0
		.amdhsa_system_sgpr_workgroup_info 0
		.amdhsa_system_vgpr_workitem_id 0
		.amdhsa_next_free_vgpr 34
		.amdhsa_next_free_sgpr 25
		.amdhsa_accum_offset 36
		.amdhsa_reserve_vcc 1
		.amdhsa_reserve_flat_scratch 0
		.amdhsa_float_round_mode_32 0
		.amdhsa_float_round_mode_16_64 0
		.amdhsa_float_denorm_mode_32 3
		.amdhsa_float_denorm_mode_16_64 3
		.amdhsa_dx10_clamp 1
		.amdhsa_ieee_mode 1
		.amdhsa_fp16_overflow 0
		.amdhsa_tg_split 0
		.amdhsa_exception_fp_ieee_invalid_op 0
		.amdhsa_exception_fp_denorm_src 0
		.amdhsa_exception_fp_ieee_div_zero 0
		.amdhsa_exception_fp_ieee_overflow 0
		.amdhsa_exception_fp_ieee_underflow 0
		.amdhsa_exception_fp_ieee_inexact 0
		.amdhsa_exception_int_div_zero 0
	.end_amdhsa_kernel
	.section	.text._ZN2at6native12_GLOBAL__N_125multi_tensor_apply_kernelINS1_18TensorListMetadataILi2EEENS1_27BinaryOpScalarTensorFunctorIhLi2ELi1ELi1EEEJSt10multipliesIhEPhhEEEvT_T0_DpT1_,"axG",@progbits,_ZN2at6native12_GLOBAL__N_125multi_tensor_apply_kernelINS1_18TensorListMetadataILi2EEENS1_27BinaryOpScalarTensorFunctorIhLi2ELi1ELi1EEEJSt10multipliesIhEPhhEEEvT_T0_DpT1_,comdat
.Lfunc_end36:
	.size	_ZN2at6native12_GLOBAL__N_125multi_tensor_apply_kernelINS1_18TensorListMetadataILi2EEENS1_27BinaryOpScalarTensorFunctorIhLi2ELi1ELi1EEEJSt10multipliesIhEPhhEEEvT_T0_DpT1_, .Lfunc_end36-_ZN2at6native12_GLOBAL__N_125multi_tensor_apply_kernelINS1_18TensorListMetadataILi2EEENS1_27BinaryOpScalarTensorFunctorIhLi2ELi1ELi1EEEJSt10multipliesIhEPhhEEEvT_T0_DpT1_
                                        ; -- End function
	.section	.AMDGPU.csdata,"",@progbits
; Kernel info:
; codeLenInByte = 1240
; NumSgprs: 29
; NumVgprs: 34
; NumAgprs: 0
; TotalNumVgprs: 34
; ScratchSize: 0
; MemoryBound: 0
; FloatMode: 240
; IeeeMode: 1
; LDSByteSize: 0 bytes/workgroup (compile time only)
; SGPRBlocks: 3
; VGPRBlocks: 4
; NumSGPRsForWavesPerEU: 29
; NumVGPRsForWavesPerEU: 34
; AccumOffset: 36
; Occupancy: 8
; WaveLimiterHint : 0
; COMPUTE_PGM_RSRC2:SCRATCH_EN: 0
; COMPUTE_PGM_RSRC2:USER_SGPR: 6
; COMPUTE_PGM_RSRC2:TRAP_HANDLER: 0
; COMPUTE_PGM_RSRC2:TGID_X_EN: 1
; COMPUTE_PGM_RSRC2:TGID_Y_EN: 0
; COMPUTE_PGM_RSRC2:TGID_Z_EN: 0
; COMPUTE_PGM_RSRC2:TIDIG_COMP_CNT: 0
; COMPUTE_PGM_RSRC3_GFX90A:ACCUM_OFFSET: 8
; COMPUTE_PGM_RSRC3_GFX90A:TG_SPLIT: 0
	.section	.text._ZN2at6native12_GLOBAL__N_125multi_tensor_apply_kernelINS1_18TensorListMetadataILi2EEENS1_27BinaryOpScalarTensorFunctorIaLi2ELi1ELi1EEEJSt10multipliesIaEPaaEEEvT_T0_DpT1_,"axG",@progbits,_ZN2at6native12_GLOBAL__N_125multi_tensor_apply_kernelINS1_18TensorListMetadataILi2EEENS1_27BinaryOpScalarTensorFunctorIaLi2ELi1ELi1EEEJSt10multipliesIaEPaaEEEvT_T0_DpT1_,comdat
	.globl	_ZN2at6native12_GLOBAL__N_125multi_tensor_apply_kernelINS1_18TensorListMetadataILi2EEENS1_27BinaryOpScalarTensorFunctorIaLi2ELi1ELi1EEEJSt10multipliesIaEPaaEEEvT_T0_DpT1_ ; -- Begin function _ZN2at6native12_GLOBAL__N_125multi_tensor_apply_kernelINS1_18TensorListMetadataILi2EEENS1_27BinaryOpScalarTensorFunctorIaLi2ELi1ELi1EEEJSt10multipliesIaEPaaEEEvT_T0_DpT1_
	.p2align	8
	.type	_ZN2at6native12_GLOBAL__N_125multi_tensor_apply_kernelINS1_18TensorListMetadataILi2EEENS1_27BinaryOpScalarTensorFunctorIaLi2ELi1ELi1EEEJSt10multipliesIaEPaaEEEvT_T0_DpT1_,@function
_ZN2at6native12_GLOBAL__N_125multi_tensor_apply_kernelINS1_18TensorListMetadataILi2EEENS1_27BinaryOpScalarTensorFunctorIaLi2ELi1ELi1EEEJSt10multipliesIaEPaaEEEvT_T0_DpT1_: ; @_ZN2at6native12_GLOBAL__N_125multi_tensor_apply_kernelINS1_18TensorListMetadataILi2EEENS1_27BinaryOpScalarTensorFunctorIaLi2ELi1ELi1EEEJSt10multipliesIaEPaaEEEvT_T0_DpT1_
; %bb.0:
	v_mov_b32_e32 v1, s6
	global_load_ubyte v1, v1, s[4:5] offset:1536
	s_add_u32 s0, s4, s6
	s_mul_hi_u32 s1, s6, 3
	s_mul_i32 s6, s6, 3
	s_addc_u32 s2, s5, 0
	s_add_u32 s0, s0, s6
	s_addc_u32 s1, s2, s1
	s_load_dword s0, s[0:1], 0x740
	s_waitcnt vmcnt(0)
	v_readfirstlane_b32 s1, v1
	s_load_dword s22, s[4:5], 0xc58
	s_lshl_b32 s1, s1, 3
	s_load_dwordx2 s[2:3], s[4:5], s1 offset:0x0
	s_load_dwordx2 s[8:9], s[4:5], 0xc50
	s_load_dwordx2 s[14:15], s[4:5], s1 offset:0x400
	s_load_dwordx2 s[6:7], s[4:5], s1 offset:0x200
	s_waitcnt lgkmcnt(0)
	s_ashr_i32 s1, s0, 31
	s_lshl_b64 s[12:13], s[0:1], 16
	s_add_u32 s10, s2, s12
	s_addc_u32 s11, s3, s13
	s_add_u32 s23, s6, s12
	s_addc_u32 s20, s7, s13
	s_or_b64 s[0:1], s[14:15], s[10:11]
	s_or_b32 s0, s23, s0
	s_and_b32 s0, s0, 3
	s_sub_u32 s14, s14, s12
	s_subb_u32 s15, s15, s13
	s_cmp_eq_u32 s0, 0
	s_mov_b64 s[0:1], -1
	s_cbranch_scc0 .LBB37_5
; %bb.1:
	v_lshlrev_b32_e32 v2, 2, v0
	v_mov_b32_e32 v3, 0
	v_cmp_gt_i64_e32 vcc, s[14:15], v[2:3]
	s_and_saveexec_b64 s[16:17], vcc
	s_cbranch_execz .LBB37_4
; %bb.2:
	s_load_dword s0, s[4:5], 0xc6c
	s_mov_b32 s1, 0
	s_and_b32 s24, s22, 0xff
	s_mov_b64 s[18:19], 0
	v_mov_b32_e32 v1, s11
	s_waitcnt lgkmcnt(0)
	s_and_b32 s0, s0, 0xffff
	s_lshl_b32 s11, s0, 2
	v_mov_b32_e32 v6, s20
	v_mov_b32_e32 v7, s1
	s_mov_b64 s[20:21], 0xffff
	v_mov_b32_e32 v8, 8
	v_pk_mov_b32 v[4:5], v[2:3], v[2:3] op_sel:[0,1]
.LBB37_3:                               ; =>This Inner Loop Header: Depth=1
	v_add_co_u32_e32 v10, vcc, s10, v4
	v_addc_co_u32_e32 v11, vcc, v1, v5, vcc
	global_load_ubyte v2, v3, s[8:9]
	global_load_dword v9, v[10:11], off
	v_add_co_u32_e32 v10, vcc, s23, v4
	v_addc_co_u32_e32 v11, vcc, v6, v5, vcc
	v_add_co_u32_e32 v4, vcc, s11, v4
	v_addc_co_u32_e32 v5, vcc, v7, v5, vcc
	v_cmp_le_i64_e32 vcc, s[14:15], v[4:5]
	v_cmp_lt_u64_e64 s[0:1], s[20:21], v[4:5]
	s_or_b64 s[0:1], vcc, s[0:1]
	s_and_b64 s[0:1], exec, s[0:1]
	s_or_b64 s[18:19], s[0:1], s[18:19]
	s_waitcnt vmcnt(1)
	v_mul_lo_u32 v2, v2, s24
	s_waitcnt vmcnt(0)
	v_lshrrev_b32_e32 v12, 8, v9
	v_mul_lo_u16_sdwa v14, v2, v9 dst_sel:DWORD dst_unused:UNUSED_PAD src0_sel:DWORD src1_sel:WORD_1
	v_mul_lo_u16_e32 v13, v2, v9
	v_mul_lo_u16_sdwa v9, v2, v9 dst_sel:DWORD dst_unused:UNUSED_PAD src0_sel:DWORD src1_sel:BYTE_3
	v_mul_lo_u16_e32 v2, v2, v12
	v_and_b32_e32 v12, 0xff, v14
	v_lshlrev_b32_e32 v12, 16, v12
	v_and_b32_e32 v13, 0xff, v13
	v_lshlrev_b32_sdwa v2, v8, v2 dst_sel:DWORD dst_unused:UNUSED_PAD src0_sel:DWORD src1_sel:BYTE_0
	v_lshl_or_b32 v9, v9, 24, v12
	v_or3_b32 v2, v9, v2, v13
	global_store_dword v[10:11], v2, off
	s_andn2_b64 exec, exec, s[18:19]
	s_cbranch_execnz .LBB37_3
.LBB37_4:
	s_or_b64 exec, exec, s[16:17]
	s_mov_b64 s[0:1], 0
.LBB37_5:
	s_andn2_b64 vcc, exec, s[0:1]
	s_cbranch_vccnz .LBB37_25
; %bb.6:
	v_cmp_lt_i64_e64 s[0:1], s[14:15], 1
	s_and_b64 vcc, exec, s[0:1]
	s_cbranch_vccnz .LBB37_25
; %bb.7:
	s_load_dword s0, s[4:5], 0xc6c
	v_mov_b32_e32 v2, 0x10000
	v_mov_b32_e32 v3, 0
	v_cmp_lt_u64_e32 vcc, s[14:15], v[2:3]
	v_mov_b32_e32 v2, s13
	s_waitcnt lgkmcnt(0)
	s_and_b32 s4, s0, 0xffff
	s_and_b64 s[0:1], vcc, exec
	v_add_co_u32_e32 v3, vcc, s12, v0
	v_addc_co_u32_e32 v2, vcc, 0, v2, vcc
	v_mov_b32_e32 v21, s3
	v_add_co_u32_e32 v4, vcc, s2, v3
	s_cselect_b32 s11, s15, 0
	s_cselect_b32 s10, s14, 0x10000
	s_lshl_b32 s5, s4, 1
	s_mul_i32 s0, s4, 3
	s_lshl_b32 s16, s4, 2
	s_and_b32 s17, s22, 0xff
	v_addc_co_u32_e32 v5, vcc, v21, v2, vcc
	v_mov_b32_e32 v23, s7
	v_add_co_u32_e32 v6, vcc, s6, v3
	s_add_u32 s1, s12, s0
	v_addc_co_u32_e32 v7, vcc, v23, v2, vcc
	s_addc_u32 s3, s13, 0
	v_mov_b32_e32 v8, s3
	v_add_co_u32_e32 v10, vcc, s1, v0
	v_addc_co_u32_e32 v11, vcc, 0, v8, vcc
	v_add_co_u32_e32 v8, vcc, s2, v10
	v_addc_co_u32_e32 v9, vcc, v21, v11, vcc
	;; [unrolled: 2-line block ×3, first 2 shown]
	v_add_co_u32_e32 v12, vcc, s0, v0
	v_addc_co_u32_e64 v13, s[0:1], 0, 0, vcc
	s_add_u32 s0, s12, s5
	s_addc_u32 s1, s13, 0
	v_mov_b32_e32 v14, s1
	v_add_co_u32_e32 v16, vcc, s0, v0
	v_addc_co_u32_e32 v17, vcc, 0, v14, vcc
	v_add_co_u32_e32 v14, vcc, s2, v16
	v_addc_co_u32_e32 v15, vcc, v21, v17, vcc
	;; [unrolled: 2-line block ×3, first 2 shown]
	v_add_co_u32_e32 v18, vcc, s5, v0
	v_addc_co_u32_e64 v19, s[0:1], 0, 0, vcc
	v_add_co_u32_e32 v3, vcc, s4, v3
	v_addc_co_u32_e32 v2, vcc, 0, v2, vcc
	v_add_co_u32_e32 v20, vcc, s2, v3
	v_addc_co_u32_e32 v21, vcc, v21, v2, vcc
	;; [unrolled: 2-line block ×3, first 2 shown]
	v_add_co_u32_e32 v24, vcc, s4, v0
	v_mov_b32_e32 v1, 0
	v_addc_co_u32_e64 v25, s[0:1], 0, 0, vcc
	s_mov_b64 s[12:13], 0
	v_pk_mov_b32 v[2:3], s[14:15], s[14:15] op_sel:[0,1]
	s_branch .LBB37_9
.LBB37_8:                               ;   in Loop: Header=BB37_9 Depth=1
	s_or_b64 exec, exec, s[0:1]
	s_add_u32 s12, s12, s16
	v_mov_b32_e32 v26, 0xffff
	s_addc_u32 s13, s13, 0
	v_mov_b32_e32 v27, 0
	v_cmp_ge_i64_e32 vcc, s[12:13], v[2:3]
	v_cmp_gt_u64_e64 s[0:1], s[12:13], v[26:27]
	s_or_b64 s[0:1], vcc, s[0:1]
	s_and_b64 vcc, exec, s[0:1]
	s_cbranch_vccnz .LBB37_25
.LBB37_9:                               ; =>This Inner Loop Header: Depth=1
	v_mov_b32_e32 v27, s13
	v_add_co_u32_e32 v26, vcc, s12, v0
	v_addc_co_u32_e32 v27, vcc, 0, v27, vcc
	v_cmp_gt_u64_e32 vcc, s[10:11], v[26:27]
	v_mov_b32_e32 v27, 0
	s_and_saveexec_b64 s[2:3], vcc
	s_cbranch_execz .LBB37_11
; %bb.10:                               ;   in Loop: Header=BB37_9 Depth=1
	v_mov_b32_e32 v27, s13
	v_add_co_u32_e64 v26, s[0:1], s12, v4
	v_addc_co_u32_e64 v27, s[0:1], v5, v27, s[0:1]
	global_load_ubyte v27, v[26:27], off
.LBB37_11:                              ;   in Loop: Header=BB37_9 Depth=1
	s_or_b64 exec, exec, s[2:3]
	v_mov_b32_e32 v26, s13
	v_add_co_u32_e64 v28, s[0:1], s12, v24
	v_addc_co_u32_e64 v29, s[0:1], v25, v26, s[0:1]
	v_cmp_gt_u64_e64 s[0:1], s[10:11], v[28:29]
	v_mov_b32_e32 v26, 0
	v_mov_b32_e32 v28, 0
	s_and_saveexec_b64 s[4:5], s[0:1]
	s_cbranch_execz .LBB37_13
; %bb.12:                               ;   in Loop: Header=BB37_9 Depth=1
	v_mov_b32_e32 v29, s13
	v_add_co_u32_e64 v28, s[2:3], s12, v20
	v_addc_co_u32_e64 v29, s[2:3], v21, v29, s[2:3]
	global_load_ubyte v28, v[28:29], off
.LBB37_13:                              ;   in Loop: Header=BB37_9 Depth=1
	s_or_b64 exec, exec, s[4:5]
	v_mov_b32_e32 v29, s13
	v_add_co_u32_e64 v30, s[2:3], s12, v18
	v_addc_co_u32_e64 v31, s[2:3], v19, v29, s[2:3]
	v_cmp_gt_u64_e64 s[2:3], s[10:11], v[30:31]
	s_and_saveexec_b64 s[6:7], s[2:3]
	s_cbranch_execz .LBB37_15
; %bb.14:                               ;   in Loop: Header=BB37_9 Depth=1
	v_mov_b32_e32 v26, s13
	v_add_co_u32_e64 v30, s[4:5], s12, v14
	v_addc_co_u32_e64 v31, s[4:5], v15, v26, s[4:5]
	global_load_ubyte v26, v[30:31], off
.LBB37_15:                              ;   in Loop: Header=BB37_9 Depth=1
	s_or_b64 exec, exec, s[6:7]
	v_mov_b32_e32 v29, s13
	v_add_co_u32_e64 v30, s[4:5], s12, v12
	v_addc_co_u32_e64 v31, s[4:5], v13, v29, s[4:5]
	v_cmp_gt_u64_e64 s[4:5], s[10:11], v[30:31]
	v_mov_b32_e32 v29, 0
	s_and_saveexec_b64 s[14:15], s[4:5]
	s_cbranch_execz .LBB37_17
; %bb.16:                               ;   in Loop: Header=BB37_9 Depth=1
	v_mov_b32_e32 v29, s13
	v_add_co_u32_e64 v30, s[6:7], s12, v8
	v_addc_co_u32_e64 v31, s[6:7], v9, v29, s[6:7]
	global_load_ubyte v29, v[30:31], off
.LBB37_17:                              ;   in Loop: Header=BB37_9 Depth=1
	s_or_b64 exec, exec, s[14:15]
	global_load_ubyte v30, v1, s[8:9]
	s_waitcnt vmcnt(0)
	v_mul_lo_u32 v30, v30, s17
	s_and_saveexec_b64 s[6:7], vcc
	s_cbranch_execnz .LBB37_21
; %bb.18:                               ;   in Loop: Header=BB37_9 Depth=1
	s_or_b64 exec, exec, s[6:7]
	s_and_saveexec_b64 s[6:7], s[0:1]
	s_cbranch_execnz .LBB37_22
.LBB37_19:                              ;   in Loop: Header=BB37_9 Depth=1
	s_or_b64 exec, exec, s[6:7]
	s_and_saveexec_b64 s[0:1], s[2:3]
	s_cbranch_execnz .LBB37_23
.LBB37_20:                              ;   in Loop: Header=BB37_9 Depth=1
	s_or_b64 exec, exec, s[0:1]
	s_and_saveexec_b64 s[0:1], s[4:5]
	s_cbranch_execz .LBB37_8
	s_branch .LBB37_24
.LBB37_21:                              ;   in Loop: Header=BB37_9 Depth=1
	v_mov_b32_e32 v31, s13
	v_add_co_u32_e32 v32, vcc, s12, v6
	v_addc_co_u32_e32 v33, vcc, v7, v31, vcc
	v_mul_lo_u16_e32 v27, v30, v27
	global_store_byte v[32:33], v27, off
	s_or_b64 exec, exec, s[6:7]
	s_and_saveexec_b64 s[6:7], s[0:1]
	s_cbranch_execz .LBB37_19
.LBB37_22:                              ;   in Loop: Header=BB37_9 Depth=1
	v_mul_lo_u16_e32 v27, v30, v28
	v_mov_b32_e32 v28, s13
	v_add_co_u32_e32 v32, vcc, s12, v22
	v_addc_co_u32_e32 v33, vcc, v23, v28, vcc
	global_store_byte v[32:33], v27, off
	s_or_b64 exec, exec, s[6:7]
	s_and_saveexec_b64 s[0:1], s[2:3]
	s_cbranch_execz .LBB37_20
.LBB37_23:                              ;   in Loop: Header=BB37_9 Depth=1
	v_mul_lo_u16_e32 v28, v30, v26
	v_mov_b32_e32 v27, s13
	v_add_co_u32_e32 v26, vcc, s12, v16
	v_addc_co_u32_e32 v27, vcc, v17, v27, vcc
	global_store_byte v[26:27], v28, off
	s_or_b64 exec, exec, s[0:1]
	s_and_saveexec_b64 s[0:1], s[4:5]
	s_cbranch_execz .LBB37_8
.LBB37_24:                              ;   in Loop: Header=BB37_9 Depth=1
	v_mov_b32_e32 v27, s13
	v_add_co_u32_e32 v26, vcc, s12, v10
	v_mul_lo_u16_e32 v28, v30, v29
	v_addc_co_u32_e32 v27, vcc, v11, v27, vcc
	global_store_byte v[26:27], v28, off
	s_branch .LBB37_8
.LBB37_25:
	s_endpgm
	.section	.rodata,"a",@progbits
	.p2align	6, 0x0
	.amdhsa_kernel _ZN2at6native12_GLOBAL__N_125multi_tensor_apply_kernelINS1_18TensorListMetadataILi2EEENS1_27BinaryOpScalarTensorFunctorIaLi2ELi1ELi1EEEJSt10multipliesIaEPaaEEEvT_T0_DpT1_
		.amdhsa_group_segment_fixed_size 0
		.amdhsa_private_segment_fixed_size 0
		.amdhsa_kernarg_size 3424
		.amdhsa_user_sgpr_count 6
		.amdhsa_user_sgpr_private_segment_buffer 1
		.amdhsa_user_sgpr_dispatch_ptr 0
		.amdhsa_user_sgpr_queue_ptr 0
		.amdhsa_user_sgpr_kernarg_segment_ptr 1
		.amdhsa_user_sgpr_dispatch_id 0
		.amdhsa_user_sgpr_flat_scratch_init 0
		.amdhsa_user_sgpr_kernarg_preload_length 0
		.amdhsa_user_sgpr_kernarg_preload_offset 0
		.amdhsa_user_sgpr_private_segment_size 0
		.amdhsa_uses_dynamic_stack 0
		.amdhsa_system_sgpr_private_segment_wavefront_offset 0
		.amdhsa_system_sgpr_workgroup_id_x 1
		.amdhsa_system_sgpr_workgroup_id_y 0
		.amdhsa_system_sgpr_workgroup_id_z 0
		.amdhsa_system_sgpr_workgroup_info 0
		.amdhsa_system_vgpr_workitem_id 0
		.amdhsa_next_free_vgpr 34
		.amdhsa_next_free_sgpr 25
		.amdhsa_accum_offset 36
		.amdhsa_reserve_vcc 1
		.amdhsa_reserve_flat_scratch 0
		.amdhsa_float_round_mode_32 0
		.amdhsa_float_round_mode_16_64 0
		.amdhsa_float_denorm_mode_32 3
		.amdhsa_float_denorm_mode_16_64 3
		.amdhsa_dx10_clamp 1
		.amdhsa_ieee_mode 1
		.amdhsa_fp16_overflow 0
		.amdhsa_tg_split 0
		.amdhsa_exception_fp_ieee_invalid_op 0
		.amdhsa_exception_fp_denorm_src 0
		.amdhsa_exception_fp_ieee_div_zero 0
		.amdhsa_exception_fp_ieee_overflow 0
		.amdhsa_exception_fp_ieee_underflow 0
		.amdhsa_exception_fp_ieee_inexact 0
		.amdhsa_exception_int_div_zero 0
	.end_amdhsa_kernel
	.section	.text._ZN2at6native12_GLOBAL__N_125multi_tensor_apply_kernelINS1_18TensorListMetadataILi2EEENS1_27BinaryOpScalarTensorFunctorIaLi2ELi1ELi1EEEJSt10multipliesIaEPaaEEEvT_T0_DpT1_,"axG",@progbits,_ZN2at6native12_GLOBAL__N_125multi_tensor_apply_kernelINS1_18TensorListMetadataILi2EEENS1_27BinaryOpScalarTensorFunctorIaLi2ELi1ELi1EEEJSt10multipliesIaEPaaEEEvT_T0_DpT1_,comdat
.Lfunc_end37:
	.size	_ZN2at6native12_GLOBAL__N_125multi_tensor_apply_kernelINS1_18TensorListMetadataILi2EEENS1_27BinaryOpScalarTensorFunctorIaLi2ELi1ELi1EEEJSt10multipliesIaEPaaEEEvT_T0_DpT1_, .Lfunc_end37-_ZN2at6native12_GLOBAL__N_125multi_tensor_apply_kernelINS1_18TensorListMetadataILi2EEENS1_27BinaryOpScalarTensorFunctorIaLi2ELi1ELi1EEEJSt10multipliesIaEPaaEEEvT_T0_DpT1_
                                        ; -- End function
	.section	.AMDGPU.csdata,"",@progbits
; Kernel info:
; codeLenInByte = 1240
; NumSgprs: 29
; NumVgprs: 34
; NumAgprs: 0
; TotalNumVgprs: 34
; ScratchSize: 0
; MemoryBound: 0
; FloatMode: 240
; IeeeMode: 1
; LDSByteSize: 0 bytes/workgroup (compile time only)
; SGPRBlocks: 3
; VGPRBlocks: 4
; NumSGPRsForWavesPerEU: 29
; NumVGPRsForWavesPerEU: 34
; AccumOffset: 36
; Occupancy: 8
; WaveLimiterHint : 0
; COMPUTE_PGM_RSRC2:SCRATCH_EN: 0
; COMPUTE_PGM_RSRC2:USER_SGPR: 6
; COMPUTE_PGM_RSRC2:TRAP_HANDLER: 0
; COMPUTE_PGM_RSRC2:TGID_X_EN: 1
; COMPUTE_PGM_RSRC2:TGID_Y_EN: 0
; COMPUTE_PGM_RSRC2:TGID_Z_EN: 0
; COMPUTE_PGM_RSRC2:TIDIG_COMP_CNT: 0
; COMPUTE_PGM_RSRC3_GFX90A:ACCUM_OFFSET: 8
; COMPUTE_PGM_RSRC3_GFX90A:TG_SPLIT: 0
	.section	.text._ZN2at6native12_GLOBAL__N_125multi_tensor_apply_kernelINS1_18TensorListMetadataILi2EEENS1_27BinaryOpScalarTensorFunctorIiLi2ELi1ELi1EEEJSt10multipliesIiEPiiEEEvT_T0_DpT1_,"axG",@progbits,_ZN2at6native12_GLOBAL__N_125multi_tensor_apply_kernelINS1_18TensorListMetadataILi2EEENS1_27BinaryOpScalarTensorFunctorIiLi2ELi1ELi1EEEJSt10multipliesIiEPiiEEEvT_T0_DpT1_,comdat
	.globl	_ZN2at6native12_GLOBAL__N_125multi_tensor_apply_kernelINS1_18TensorListMetadataILi2EEENS1_27BinaryOpScalarTensorFunctorIiLi2ELi1ELi1EEEJSt10multipliesIiEPiiEEEvT_T0_DpT1_ ; -- Begin function _ZN2at6native12_GLOBAL__N_125multi_tensor_apply_kernelINS1_18TensorListMetadataILi2EEENS1_27BinaryOpScalarTensorFunctorIiLi2ELi1ELi1EEEJSt10multipliesIiEPiiEEEvT_T0_DpT1_
	.p2align	8
	.type	_ZN2at6native12_GLOBAL__N_125multi_tensor_apply_kernelINS1_18TensorListMetadataILi2EEENS1_27BinaryOpScalarTensorFunctorIiLi2ELi1ELi1EEEJSt10multipliesIiEPiiEEEvT_T0_DpT1_,@function
_ZN2at6native12_GLOBAL__N_125multi_tensor_apply_kernelINS1_18TensorListMetadataILi2EEENS1_27BinaryOpScalarTensorFunctorIiLi2ELi1ELi1EEEJSt10multipliesIiEPiiEEEvT_T0_DpT1_: ; @_ZN2at6native12_GLOBAL__N_125multi_tensor_apply_kernelINS1_18TensorListMetadataILi2EEENS1_27BinaryOpScalarTensorFunctorIiLi2ELi1ELi1EEEJSt10multipliesIiEPiiEEEvT_T0_DpT1_
; %bb.0:
	v_mov_b32_e32 v1, s6
	global_load_ubyte v1, v1, s[4:5] offset:1536
	s_load_dword s22, s[4:5], 0xc58
	s_add_u32 s0, s4, s6
	s_mul_hi_u32 s2, s6, 3
	s_mul_i32 s6, s6, 3
	s_addc_u32 s7, s5, 0
	s_add_u32 s6, s0, s6
	s_addc_u32 s7, s7, s2
	s_load_dword s12, s[6:7], 0x740
	s_mov_b32 s1, 0
	s_mov_b32 s19, s1
	s_mov_b32 s3, s1
	s_waitcnt lgkmcnt(0)
	s_ashr_i32 s13, s12, 31
	s_lshl_b64 s[10:11], s[12:13], 18
	s_lshl_b64 s[12:13], s[12:13], 16
	s_waitcnt vmcnt(0)
	v_readfirstlane_b32 s0, v1
	s_lshl_b32 s0, s0, 3
	s_load_dwordx2 s[16:17], s[4:5], s0 offset:0x0
	s_load_dwordx2 s[8:9], s[4:5], 0xc50
	s_load_dwordx2 s[14:15], s[4:5], s0 offset:0x400
	s_load_dwordx2 s[6:7], s[4:5], s0 offset:0x200
	s_waitcnt lgkmcnt(0)
	s_and_b32 s0, s16, 15
	s_and_b32 s18, s14, 3
	;; [unrolled: 1-line block ×3, first 2 shown]
	s_or_b64 s[18:19], s[0:1], s[18:19]
	s_or_b64 s[2:3], s[2:3], s[18:19]
	s_sub_u32 s12, s14, s12
	s_subb_u32 s13, s15, s13
	s_cmp_eq_u64 s[2:3], 0
	s_mov_b64 s[2:3], -1
	s_cbranch_scc0 .LBB38_5
; %bb.1:
	v_mov_b32_e32 v3, 0
	v_lshlrev_b32_e32 v2, 2, v0
	v_cmp_gt_i64_e32 vcc, s[12:13], v[2:3]
	s_and_saveexec_b64 s[14:15], vcc
	s_cbranch_execz .LBB38_4
; %bb.2:
	s_load_dword s0, s[4:5], 0xc6c
	v_lshlrev_b32_e32 v1, 4, v0
	v_mov_b32_e32 v4, s11
	v_add_co_u32_e32 v1, vcc, s10, v1
	s_waitcnt lgkmcnt(0)
	s_and_b32 s0, s0, 0xffff
	v_addc_co_u32_e32 v5, vcc, 0, v4, vcc
	v_add_lshl_u32 v2, v0, s0, 2
	v_add_co_u32_e32 v4, vcc, 8, v1
	s_lshl_b32 s23, s0, 2
	v_addc_co_u32_e32 v1, vcc, 0, v5, vcc
	s_lshl_b32 s24, s0, 4
	s_mov_b64 s[18:19], 0
	v_mov_b32_e32 v5, s17
	v_mov_b32_e32 v8, s7
	s_mov_b64 s[20:21], 0xffff
	v_mov_b32_e32 v9, s1
	v_mov_b32_e32 v10, s1
	v_pk_mov_b32 v[6:7], v[2:3], v[2:3] op_sel:[0,1]
.LBB38_3:                               ; =>This Inner Loop Header: Depth=1
	v_add_co_u32_e32 v16, vcc, s16, v4
	v_addc_co_u32_e32 v17, vcc, v5, v1, vcc
	global_load_dword v2, v3, s[8:9]
	global_load_dwordx4 v[12:15], v[16:17], off offset:-8
	v_add_co_u32_e32 v16, vcc, s6, v4
	v_addc_co_u32_e32 v17, vcc, v8, v1, vcc
	v_cmp_le_i64_e32 vcc, s[12:13], v[6:7]
	v_cmp_lt_u64_e64 s[0:1], s[20:21], v[6:7]
	v_add_co_u32_e64 v6, s[2:3], s23, v6
	v_addc_co_u32_e64 v7, s[2:3], v7, v9, s[2:3]
	s_or_b64 s[0:1], vcc, s[0:1]
	v_add_co_u32_e64 v4, s[2:3], s24, v4
	s_and_b64 s[0:1], exec, s[0:1]
	v_addc_co_u32_e64 v1, s[2:3], v1, v10, s[2:3]
	s_or_b64 s[18:19], s[0:1], s[18:19]
	s_waitcnt vmcnt(1)
	v_mul_lo_u32 v2, v2, s22
	s_waitcnt vmcnt(0)
	v_mul_lo_u32 v13, v2, v13
	v_mul_lo_u32 v12, v2, v12
	;; [unrolled: 1-line block ×4, first 2 shown]
	global_store_dwordx4 v[16:17], v[12:15], off offset:-8
	s_andn2_b64 exec, exec, s[18:19]
	s_cbranch_execnz .LBB38_3
.LBB38_4:
	s_or_b64 exec, exec, s[14:15]
	s_mov_b64 s[2:3], 0
.LBB38_5:
	s_andn2_b64 vcc, exec, s[2:3]
	s_cbranch_vccnz .LBB38_25
; %bb.6:
	v_cmp_lt_i64_e64 s[0:1], s[12:13], 1
	s_and_b64 vcc, exec, s[0:1]
	s_cbranch_vccnz .LBB38_25
; %bb.7:
	s_load_dword s0, s[4:5], 0xc6c
	v_mov_b32_e32 v4, 0x10000
	v_mov_b32_e32 v5, 0
	v_cmp_lt_u64_e32 vcc, s[12:13], v[4:5]
	v_lshlrev_b32_e32 v2, 2, v0
	s_waitcnt lgkmcnt(0)
	s_and_b32 s2, s0, 0xffff
	s_and_b64 s[0:1], vcc, exec
	v_mov_b32_e32 v15, s17
	v_add_co_u32_e32 v4, vcc, s16, v2
	v_addc_co_u32_e32 v1, vcc, 0, v15, vcc
	v_mov_b32_e32 v3, 0
	v_mov_b32_e32 v17, s7
	v_add_co_u32_e32 v6, vcc, s6, v2
	v_addc_co_u32_e32 v5, vcc, 0, v17, vcc
	v_mad_u64_u32 v[10:11], s[0:1], s2, 12, v[2:3]
	v_add_co_u32_e32 v8, vcc, s16, v10
	v_addc_co_u32_e32 v7, vcc, v15, v11, vcc
	v_add_co_u32_e32 v10, vcc, s6, v10
	s_mul_i32 s4, s2, 3
	v_addc_co_u32_e32 v9, vcc, v17, v11, vcc
	v_add_co_u32_e32 v18, vcc, s4, v0
	v_addc_co_u32_e64 v19, s[0:1], 0, 0, vcc
	s_cselect_b32 s15, s13, 0
	s_cselect_b32 s14, s12, 0x10000
	s_lshl_b32 s0, s2, 3
	v_add_co_u32_e32 v12, vcc, s0, v2
	v_addc_co_u32_e64 v13, s[0:1], 0, 0, vcc
	v_add_co_u32_e32 v2, vcc, s16, v12
	v_addc_co_u32_e32 v11, vcc, v15, v13, vcc
	v_add_co_u32_e32 v12, vcc, s6, v12
	s_lshl_b32 s3, s2, 1
	v_addc_co_u32_e32 v13, vcc, v17, v13, vcc
	v_add_co_u32_e32 v20, vcc, s3, v0
	v_addc_co_u32_e64 v21, s[0:1], 0, 0, vcc
	v_add_co_u32_e32 v22, vcc, s2, v0
	v_lshlrev_b32_e32 v16, 2, v22
	v_addc_co_u32_e64 v23, s[0:1], 0, 0, vcc
	v_add_co_u32_e32 v14, vcc, s16, v16
	v_addc_co_u32_e32 v15, vcc, 0, v15, vcc
	v_add_co_u32_e32 v16, vcc, s6, v16
	s_mov_b32 s20, 0
	s_lshl_b32 s21, s2, 2
	s_lshl_b32 s23, s2, 4
	v_addc_co_u32_e32 v17, vcc, 0, v17, vcc
	s_mov_b64 s[16:17], 0
	s_branch .LBB38_9
.LBB38_8:                               ;   in Loop: Header=BB38_9 Depth=1
	s_or_b64 exec, exec, s[0:1]
	s_add_u32 s16, s16, s21
	s_addc_u32 s17, s17, 0
	v_pk_mov_b32 v[24:25], s[12:13], s[12:13] op_sel:[0,1]
	v_cmp_ge_i64_e32 vcc, s[16:17], v[24:25]
	v_mov_b32_e32 v24, 0xffff
	v_mov_b32_e32 v25, 0
	v_cmp_gt_u64_e64 s[0:1], s[16:17], v[24:25]
	s_or_b64 s[0:1], vcc, s[0:1]
	v_mov_b32_e32 v24, s20
	v_add_co_u32_e32 v4, vcc, s23, v4
	v_addc_co_u32_e32 v1, vcc, v1, v24, vcc
	v_add_co_u32_e32 v6, vcc, s23, v6
	v_addc_co_u32_e32 v5, vcc, v5, v24, vcc
	;; [unrolled: 2-line block ×8, first 2 shown]
	s_and_b64 vcc, exec, s[0:1]
	s_cbranch_vccnz .LBB38_25
.LBB38_9:                               ; =>This Inner Loop Header: Depth=1
	v_mov_b32_e32 v25, s17
	v_add_co_u32_e32 v24, vcc, s16, v0
	v_addc_co_u32_e32 v25, vcc, 0, v25, vcc
	v_cmp_gt_u64_e32 vcc, s[14:15], v[24:25]
	v_mov_b32_e32 v25, 0
	s_and_saveexec_b64 s[2:3], vcc
	s_cbranch_execz .LBB38_11
; %bb.10:                               ;   in Loop: Header=BB38_9 Depth=1
	v_mov_b32_e32 v25, s11
	v_add_co_u32_e64 v24, s[0:1], s10, v4
	v_addc_co_u32_e64 v25, s[0:1], v1, v25, s[0:1]
	global_load_dword v25, v[24:25], off
.LBB38_11:                              ;   in Loop: Header=BB38_9 Depth=1
	s_or_b64 exec, exec, s[2:3]
	v_mov_b32_e32 v24, s17
	v_add_co_u32_e64 v26, s[0:1], s16, v22
	v_addc_co_u32_e64 v27, s[0:1], v23, v24, s[0:1]
	v_cmp_gt_u64_e64 s[0:1], s[14:15], v[26:27]
	v_mov_b32_e32 v24, 0
	v_mov_b32_e32 v26, 0
	s_and_saveexec_b64 s[4:5], s[0:1]
	s_cbranch_execz .LBB38_13
; %bb.12:                               ;   in Loop: Header=BB38_9 Depth=1
	v_mov_b32_e32 v27, s11
	v_add_co_u32_e64 v26, s[2:3], s10, v14
	v_addc_co_u32_e64 v27, s[2:3], v15, v27, s[2:3]
	global_load_dword v26, v[26:27], off
.LBB38_13:                              ;   in Loop: Header=BB38_9 Depth=1
	s_or_b64 exec, exec, s[4:5]
	v_mov_b32_e32 v27, s17
	v_add_co_u32_e64 v28, s[2:3], s16, v20
	v_addc_co_u32_e64 v29, s[2:3], v21, v27, s[2:3]
	v_cmp_gt_u64_e64 s[2:3], s[14:15], v[28:29]
	s_and_saveexec_b64 s[6:7], s[2:3]
	s_cbranch_execz .LBB38_15
; %bb.14:                               ;   in Loop: Header=BB38_9 Depth=1
	v_mov_b32_e32 v24, s11
	v_add_co_u32_e64 v28, s[4:5], s10, v2
	v_addc_co_u32_e64 v29, s[4:5], v11, v24, s[4:5]
	global_load_dword v24, v[28:29], off
.LBB38_15:                              ;   in Loop: Header=BB38_9 Depth=1
	s_or_b64 exec, exec, s[6:7]
	v_mov_b32_e32 v27, s17
	v_add_co_u32_e64 v28, s[4:5], s16, v18
	v_addc_co_u32_e64 v29, s[4:5], v19, v27, s[4:5]
	v_cmp_gt_u64_e64 s[4:5], s[14:15], v[28:29]
	v_mov_b32_e32 v27, 0
	s_and_saveexec_b64 s[18:19], s[4:5]
	s_cbranch_execz .LBB38_17
; %bb.16:                               ;   in Loop: Header=BB38_9 Depth=1
	v_mov_b32_e32 v27, s11
	v_add_co_u32_e64 v28, s[6:7], s10, v8
	v_addc_co_u32_e64 v29, s[6:7], v7, v27, s[6:7]
	global_load_dword v27, v[28:29], off
.LBB38_17:                              ;   in Loop: Header=BB38_9 Depth=1
	s_or_b64 exec, exec, s[18:19]
	global_load_dword v28, v3, s[8:9]
	s_waitcnt vmcnt(0)
	v_mul_lo_u32 v28, v28, s22
	s_and_saveexec_b64 s[6:7], vcc
	s_cbranch_execnz .LBB38_21
; %bb.18:                               ;   in Loop: Header=BB38_9 Depth=1
	s_or_b64 exec, exec, s[6:7]
	s_and_saveexec_b64 s[6:7], s[0:1]
	s_cbranch_execnz .LBB38_22
.LBB38_19:                              ;   in Loop: Header=BB38_9 Depth=1
	s_or_b64 exec, exec, s[6:7]
	s_and_saveexec_b64 s[0:1], s[2:3]
	s_cbranch_execnz .LBB38_23
.LBB38_20:                              ;   in Loop: Header=BB38_9 Depth=1
	s_or_b64 exec, exec, s[0:1]
	s_and_saveexec_b64 s[0:1], s[4:5]
	s_cbranch_execz .LBB38_8
	s_branch .LBB38_24
.LBB38_21:                              ;   in Loop: Header=BB38_9 Depth=1
	v_mov_b32_e32 v29, s11
	v_add_co_u32_e32 v30, vcc, s10, v6
	v_addc_co_u32_e32 v31, vcc, v5, v29, vcc
	v_mul_lo_u32 v25, v28, v25
	global_store_dword v[30:31], v25, off
	s_or_b64 exec, exec, s[6:7]
	s_and_saveexec_b64 s[6:7], s[0:1]
	s_cbranch_execz .LBB38_19
.LBB38_22:                              ;   in Loop: Header=BB38_9 Depth=1
	v_mul_lo_u32 v25, v28, v26
	v_mov_b32_e32 v26, s11
	v_add_co_u32_e32 v30, vcc, s10, v16
	v_addc_co_u32_e32 v31, vcc, v17, v26, vcc
	global_store_dword v[30:31], v25, off
	s_or_b64 exec, exec, s[6:7]
	s_and_saveexec_b64 s[0:1], s[2:3]
	s_cbranch_execz .LBB38_20
.LBB38_23:                              ;   in Loop: Header=BB38_9 Depth=1
	v_mul_lo_u32 v26, v28, v24
	v_mov_b32_e32 v25, s11
	v_add_co_u32_e32 v24, vcc, s10, v12
	v_addc_co_u32_e32 v25, vcc, v13, v25, vcc
	global_store_dword v[24:25], v26, off
	s_or_b64 exec, exec, s[0:1]
	s_and_saveexec_b64 s[0:1], s[4:5]
	s_cbranch_execz .LBB38_8
.LBB38_24:                              ;   in Loop: Header=BB38_9 Depth=1
	v_mov_b32_e32 v25, s11
	v_add_co_u32_e32 v24, vcc, s10, v10
	v_mul_lo_u32 v26, v28, v27
	v_addc_co_u32_e32 v25, vcc, v9, v25, vcc
	global_store_dword v[24:25], v26, off
	s_branch .LBB38_8
.LBB38_25:
	s_endpgm
	.section	.rodata,"a",@progbits
	.p2align	6, 0x0
	.amdhsa_kernel _ZN2at6native12_GLOBAL__N_125multi_tensor_apply_kernelINS1_18TensorListMetadataILi2EEENS1_27BinaryOpScalarTensorFunctorIiLi2ELi1ELi1EEEJSt10multipliesIiEPiiEEEvT_T0_DpT1_
		.amdhsa_group_segment_fixed_size 0
		.amdhsa_private_segment_fixed_size 0
		.amdhsa_kernarg_size 3424
		.amdhsa_user_sgpr_count 6
		.amdhsa_user_sgpr_private_segment_buffer 1
		.amdhsa_user_sgpr_dispatch_ptr 0
		.amdhsa_user_sgpr_queue_ptr 0
		.amdhsa_user_sgpr_kernarg_segment_ptr 1
		.amdhsa_user_sgpr_dispatch_id 0
		.amdhsa_user_sgpr_flat_scratch_init 0
		.amdhsa_user_sgpr_kernarg_preload_length 0
		.amdhsa_user_sgpr_kernarg_preload_offset 0
		.amdhsa_user_sgpr_private_segment_size 0
		.amdhsa_uses_dynamic_stack 0
		.amdhsa_system_sgpr_private_segment_wavefront_offset 0
		.amdhsa_system_sgpr_workgroup_id_x 1
		.amdhsa_system_sgpr_workgroup_id_y 0
		.amdhsa_system_sgpr_workgroup_id_z 0
		.amdhsa_system_sgpr_workgroup_info 0
		.amdhsa_system_vgpr_workitem_id 0
		.amdhsa_next_free_vgpr 32
		.amdhsa_next_free_sgpr 25
		.amdhsa_accum_offset 32
		.amdhsa_reserve_vcc 1
		.amdhsa_reserve_flat_scratch 0
		.amdhsa_float_round_mode_32 0
		.amdhsa_float_round_mode_16_64 0
		.amdhsa_float_denorm_mode_32 3
		.amdhsa_float_denorm_mode_16_64 3
		.amdhsa_dx10_clamp 1
		.amdhsa_ieee_mode 1
		.amdhsa_fp16_overflow 0
		.amdhsa_tg_split 0
		.amdhsa_exception_fp_ieee_invalid_op 0
		.amdhsa_exception_fp_denorm_src 0
		.amdhsa_exception_fp_ieee_div_zero 0
		.amdhsa_exception_fp_ieee_overflow 0
		.amdhsa_exception_fp_ieee_underflow 0
		.amdhsa_exception_fp_ieee_inexact 0
		.amdhsa_exception_int_div_zero 0
	.end_amdhsa_kernel
	.section	.text._ZN2at6native12_GLOBAL__N_125multi_tensor_apply_kernelINS1_18TensorListMetadataILi2EEENS1_27BinaryOpScalarTensorFunctorIiLi2ELi1ELi1EEEJSt10multipliesIiEPiiEEEvT_T0_DpT1_,"axG",@progbits,_ZN2at6native12_GLOBAL__N_125multi_tensor_apply_kernelINS1_18TensorListMetadataILi2EEENS1_27BinaryOpScalarTensorFunctorIiLi2ELi1ELi1EEEJSt10multipliesIiEPiiEEEvT_T0_DpT1_,comdat
.Lfunc_end38:
	.size	_ZN2at6native12_GLOBAL__N_125multi_tensor_apply_kernelINS1_18TensorListMetadataILi2EEENS1_27BinaryOpScalarTensorFunctorIiLi2ELi1ELi1EEEJSt10multipliesIiEPiiEEEvT_T0_DpT1_, .Lfunc_end38-_ZN2at6native12_GLOBAL__N_125multi_tensor_apply_kernelINS1_18TensorListMetadataILi2EEENS1_27BinaryOpScalarTensorFunctorIiLi2ELi1ELi1EEEJSt10multipliesIiEPiiEEEvT_T0_DpT1_
                                        ; -- End function
	.section	.AMDGPU.csdata,"",@progbits
; Kernel info:
; codeLenInByte = 1316
; NumSgprs: 29
; NumVgprs: 32
; NumAgprs: 0
; TotalNumVgprs: 32
; ScratchSize: 0
; MemoryBound: 0
; FloatMode: 240
; IeeeMode: 1
; LDSByteSize: 0 bytes/workgroup (compile time only)
; SGPRBlocks: 3
; VGPRBlocks: 3
; NumSGPRsForWavesPerEU: 29
; NumVGPRsForWavesPerEU: 32
; AccumOffset: 32
; Occupancy: 8
; WaveLimiterHint : 0
; COMPUTE_PGM_RSRC2:SCRATCH_EN: 0
; COMPUTE_PGM_RSRC2:USER_SGPR: 6
; COMPUTE_PGM_RSRC2:TRAP_HANDLER: 0
; COMPUTE_PGM_RSRC2:TGID_X_EN: 1
; COMPUTE_PGM_RSRC2:TGID_Y_EN: 0
; COMPUTE_PGM_RSRC2:TGID_Z_EN: 0
; COMPUTE_PGM_RSRC2:TIDIG_COMP_CNT: 0
; COMPUTE_PGM_RSRC3_GFX90A:ACCUM_OFFSET: 7
; COMPUTE_PGM_RSRC3_GFX90A:TG_SPLIT: 0
	.section	.text._ZN2at6native12_GLOBAL__N_125multi_tensor_apply_kernelINS1_18TensorListMetadataILi2EEENS1_27BinaryOpScalarTensorFunctorIlLi2ELi1ELi1EEEJSt10multipliesIlEPllEEEvT_T0_DpT1_,"axG",@progbits,_ZN2at6native12_GLOBAL__N_125multi_tensor_apply_kernelINS1_18TensorListMetadataILi2EEENS1_27BinaryOpScalarTensorFunctorIlLi2ELi1ELi1EEEJSt10multipliesIlEPllEEEvT_T0_DpT1_,comdat
	.globl	_ZN2at6native12_GLOBAL__N_125multi_tensor_apply_kernelINS1_18TensorListMetadataILi2EEENS1_27BinaryOpScalarTensorFunctorIlLi2ELi1ELi1EEEJSt10multipliesIlEPllEEEvT_T0_DpT1_ ; -- Begin function _ZN2at6native12_GLOBAL__N_125multi_tensor_apply_kernelINS1_18TensorListMetadataILi2EEENS1_27BinaryOpScalarTensorFunctorIlLi2ELi1ELi1EEEJSt10multipliesIlEPllEEEvT_T0_DpT1_
	.p2align	8
	.type	_ZN2at6native12_GLOBAL__N_125multi_tensor_apply_kernelINS1_18TensorListMetadataILi2EEENS1_27BinaryOpScalarTensorFunctorIlLi2ELi1ELi1EEEJSt10multipliesIlEPllEEEvT_T0_DpT1_,@function
_ZN2at6native12_GLOBAL__N_125multi_tensor_apply_kernelINS1_18TensorListMetadataILi2EEENS1_27BinaryOpScalarTensorFunctorIlLi2ELi1ELi1EEEJSt10multipliesIlEPllEEEvT_T0_DpT1_: ; @_ZN2at6native12_GLOBAL__N_125multi_tensor_apply_kernelINS1_18TensorListMetadataILi2EEENS1_27BinaryOpScalarTensorFunctorIlLi2ELi1ELi1EEEJSt10multipliesIlEPllEEEvT_T0_DpT1_
; %bb.0:
	v_mov_b32_e32 v1, s6
	global_load_ubyte v1, v1, s[4:5] offset:1536
	s_load_dwordx4 s[8:11], s[4:5], 0xc50
	s_add_u32 s0, s4, s6
	s_mul_hi_u32 s2, s6, 3
	s_mul_i32 s6, s6, 3
	s_addc_u32 s7, s5, 0
	s_add_u32 s6, s0, s6
	s_addc_u32 s7, s7, s2
	s_load_dword s14, s[6:7], 0x740
	s_mov_b32 s1, 0
	s_mov_b32 s17, s1
	;; [unrolled: 1-line block ×3, first 2 shown]
	s_waitcnt vmcnt(0)
	v_readfirstlane_b32 s0, v1
	s_lshl_b32 s0, s0, 3
	s_load_dwordx2 s[18:19], s[4:5], s0 offset:0x0
	s_load_dwordx2 s[20:21], s[4:5], s0 offset:0x400
	;; [unrolled: 1-line block ×3, first 2 shown]
	s_waitcnt lgkmcnt(0)
	s_ashr_i32 s15, s14, 31
	s_lshl_b64 s[12:13], s[14:15], 19
	s_add_u32 s24, s18, s12
	s_addc_u32 s25, s19, s13
	s_and_b32 s0, s24, 31
	s_add_u32 s26, s6, s12
	s_addc_u32 s27, s7, s13
	s_and_b32 s16, s20, 3
	s_and_b32 s2, s26, 31
	s_or_b64 s[16:17], s[0:1], s[16:17]
	s_or_b64 s[2:3], s[2:3], s[16:17]
	s_lshl_b64 s[14:15], s[14:15], 16
	s_sub_u32 s14, s20, s14
	s_subb_u32 s15, s21, s15
	s_cmp_eq_u64 s[2:3], 0
	s_mov_b64 s[2:3], -1
	s_cbranch_scc0 .LBB39_5
; %bb.1:
	v_mov_b32_e32 v3, 0
	v_lshlrev_b32_e32 v2, 2, v0
	v_cmp_gt_i64_e32 vcc, s[14:15], v[2:3]
	s_and_saveexec_b64 s[16:17], vcc
	s_cbranch_execz .LBB39_4
; %bb.2:
	s_load_dword s0, s[4:5], 0xc6c
	v_lshlrev_b32_e32 v4, 5, v0
	s_mov_b64 s[20:21], 0
	s_mov_b64 s[22:23], 0xffff
	v_mov_b32_e32 v1, s1
	s_waitcnt lgkmcnt(0)
	s_and_b32 s0, s0, 0xffff
	v_add_lshl_u32 v2, v0, s0, 2
	s_lshl_b32 s28, s0, 2
	s_lshl_b32 s29, s0, 5
	v_pk_mov_b32 v[6:7], v[2:3], v[2:3] op_sel:[0,1]
.LBB39_3:                               ; =>This Inner Loop Header: Depth=1
	global_load_dwordx2 v[16:17], v3, s[8:9]
	v_mov_b32_e32 v2, s25
	v_add_co_u32_e32 v18, vcc, s24, v4
	v_addc_co_u32_e32 v19, vcc, 0, v2, vcc
	global_load_dwordx4 v[8:11], v[18:19], off
	global_load_dwordx4 v[12:15], v[18:19], off offset:16
	v_cmp_le_i64_e32 vcc, s[14:15], v[6:7]
	v_cmp_lt_u64_e64 s[0:1], s[22:23], v[6:7]
	v_add_co_u32_e64 v6, s[2:3], s28, v6
	v_addc_co_u32_e64 v7, s[2:3], v7, v1, s[2:3]
	v_mov_b32_e32 v2, s27
	v_add_co_u32_e64 v24, s[2:3], s26, v4
	v_addc_co_u32_e64 v25, s[2:3], 0, v2, s[2:3]
	s_or_b64 s[0:1], vcc, s[0:1]
	s_waitcnt vmcnt(2)
	v_readfirstlane_b32 s2, v16
	s_mul_i32 s3, s2, s11
	s_mul_hi_u32 s30, s2, s10
	s_add_i32 s30, s30, s3
	s_add_u32 s24, s24, s29
	s_addc_u32 s25, s25, 0
	v_mul_lo_u32 v2, v17, s10
	s_add_u32 s26, s26, s29
	s_mul_i32 s31, s2, s10
	v_add_u32_e32 v2, s30, v2
	s_addc_u32 s27, s27, 0
	s_waitcnt vmcnt(1)
	v_mul_lo_u32 v5, s31, v9
	v_mad_u64_u32 v[16:17], s[2:3], s31, v8, 0
	v_mul_lo_u32 v9, s31, v11
	v_mad_u64_u32 v[18:19], s[2:3], s31, v10, 0
	s_waitcnt vmcnt(0)
	v_mul_lo_u32 v11, s31, v13
	v_mad_u64_u32 v[20:21], s[2:3], s31, v12, 0
	v_mul_lo_u32 v13, s31, v15
	v_mad_u64_u32 v[22:23], s[2:3], s31, v14, 0
	v_mul_lo_u32 v8, v2, v8
	v_mul_lo_u32 v10, v2, v10
	;; [unrolled: 1-line block ×4, first 2 shown]
	s_and_b64 s[0:1], exec, s[0:1]
	v_add3_u32 v17, v17, v5, v8
	v_add3_u32 v19, v19, v9, v10
	;; [unrolled: 1-line block ×4, first 2 shown]
	s_or_b64 s[20:21], s[0:1], s[20:21]
	global_store_dwordx4 v[24:25], v[16:19], off
	global_store_dwordx4 v[24:25], v[20:23], off offset:16
	s_andn2_b64 exec, exec, s[20:21]
	s_cbranch_execnz .LBB39_3
.LBB39_4:
	s_or_b64 exec, exec, s[16:17]
	s_mov_b64 s[2:3], 0
.LBB39_5:
	s_andn2_b64 vcc, exec, s[2:3]
	s_cbranch_vccnz .LBB39_25
; %bb.6:
	v_cmp_lt_i64_e64 s[0:1], s[14:15], 1
	s_and_b64 vcc, exec, s[0:1]
	s_cbranch_vccnz .LBB39_25
; %bb.7:
	s_load_dword s0, s[4:5], 0xc6c
	v_mov_b32_e32 v4, 0x10000
	v_mov_b32_e32 v5, 0
	v_cmp_lt_u64_e32 vcc, s[14:15], v[4:5]
	v_lshlrev_b32_e32 v2, 3, v0
	s_waitcnt lgkmcnt(0)
	s_and_b32 s2, s0, 0xffff
	s_and_b64 s[0:1], vcc, exec
	v_mov_b32_e32 v15, s19
	v_add_co_u32_e32 v4, vcc, s18, v2
	v_addc_co_u32_e32 v1, vcc, 0, v15, vcc
	v_mov_b32_e32 v3, 0
	v_mov_b32_e32 v17, s7
	v_add_co_u32_e32 v6, vcc, s6, v2
	v_addc_co_u32_e32 v5, vcc, 0, v17, vcc
	v_mad_u64_u32 v[10:11], s[0:1], s2, 24, v[2:3]
	v_add_co_u32_e32 v8, vcc, s18, v10
	v_addc_co_u32_e32 v7, vcc, v15, v11, vcc
	v_add_co_u32_e32 v10, vcc, s6, v10
	s_mul_i32 s4, s2, 3
	v_addc_co_u32_e32 v9, vcc, v17, v11, vcc
	v_add_co_u32_e32 v26, vcc, s4, v0
	v_addc_co_u32_e64 v27, s[0:1], 0, 0, vcc
	s_cselect_b32 s17, s15, 0
	s_cselect_b32 s16, s14, 0x10000
	s_lshl_b32 s0, s2, 4
	v_add_co_u32_e32 v12, vcc, s0, v2
	v_addc_co_u32_e64 v13, s[0:1], 0, 0, vcc
	v_add_co_u32_e32 v2, vcc, s18, v12
	v_addc_co_u32_e32 v11, vcc, v15, v13, vcc
	v_add_co_u32_e32 v12, vcc, s6, v12
	s_lshl_b32 s3, s2, 1
	v_addc_co_u32_e32 v13, vcc, v17, v13, vcc
	v_add_co_u32_e32 v28, vcc, s3, v0
	v_addc_co_u32_e64 v29, s[0:1], 0, 0, vcc
	v_add_co_u32_e32 v30, vcc, s2, v0
	v_lshlrev_b32_e32 v16, 3, v30
	v_addc_co_u32_e64 v31, s[0:1], 0, 0, vcc
	v_add_co_u32_e32 v14, vcc, s18, v16
	v_addc_co_u32_e32 v15, vcc, 0, v15, vcc
	v_add_co_u32_e32 v16, vcc, s6, v16
	s_mov_b32 s22, 0
	s_lshl_b32 s23, s2, 2
	s_lshl_b32 s24, s2, 5
	v_addc_co_u32_e32 v17, vcc, 0, v17, vcc
	s_mov_b64 s[18:19], 0
	s_branch .LBB39_9
.LBB39_8:                               ;   in Loop: Header=BB39_9 Depth=1
	s_or_b64 exec, exec, s[0:1]
	s_add_u32 s18, s18, s23
	s_addc_u32 s19, s19, 0
	v_pk_mov_b32 v[18:19], s[14:15], s[14:15] op_sel:[0,1]
	v_cmp_ge_i64_e32 vcc, s[18:19], v[18:19]
	v_mov_b32_e32 v18, 0xffff
	v_mov_b32_e32 v19, 0
	v_cmp_gt_u64_e64 s[0:1], s[18:19], v[18:19]
	s_or_b64 s[0:1], vcc, s[0:1]
	v_mov_b32_e32 v18, s22
	v_add_co_u32_e32 v4, vcc, s24, v4
	v_addc_co_u32_e32 v1, vcc, v1, v18, vcc
	v_add_co_u32_e32 v6, vcc, s24, v6
	v_addc_co_u32_e32 v5, vcc, v5, v18, vcc
	;; [unrolled: 2-line block ×8, first 2 shown]
	s_and_b64 vcc, exec, s[0:1]
	s_cbranch_vccnz .LBB39_25
.LBB39_9:                               ; =>This Inner Loop Header: Depth=1
	v_mov_b32_e32 v19, s19
	v_add_co_u32_e32 v18, vcc, s18, v0
	v_addc_co_u32_e32 v19, vcc, 0, v19, vcc
	v_cmp_gt_u64_e32 vcc, s[16:17], v[18:19]
	v_pk_mov_b32 v[18:19], 0, 0
	v_pk_mov_b32 v[22:23], v[18:19], v[18:19] op_sel:[0,1]
	s_and_saveexec_b64 s[2:3], vcc
	s_cbranch_execz .LBB39_11
; %bb.10:                               ;   in Loop: Header=BB39_9 Depth=1
	v_mov_b32_e32 v21, s13
	v_add_co_u32_e64 v20, s[0:1], s12, v4
	v_addc_co_u32_e64 v21, s[0:1], v1, v21, s[0:1]
	global_load_dwordx2 v[22:23], v[20:21], off
.LBB39_11:                              ;   in Loop: Header=BB39_9 Depth=1
	s_or_b64 exec, exec, s[2:3]
	v_mov_b32_e32 v21, s19
	v_add_co_u32_e64 v20, s[0:1], s18, v30
	v_addc_co_u32_e64 v21, s[0:1], v31, v21, s[0:1]
	v_cmp_gt_u64_e64 s[0:1], s[16:17], v[20:21]
	s_and_saveexec_b64 s[4:5], s[0:1]
	s_cbranch_execz .LBB39_13
; %bb.12:                               ;   in Loop: Header=BB39_9 Depth=1
	v_mov_b32_e32 v19, s13
	v_add_co_u32_e64 v18, s[2:3], s12, v14
	v_addc_co_u32_e64 v19, s[2:3], v15, v19, s[2:3]
	global_load_dwordx2 v[18:19], v[18:19], off
.LBB39_13:                              ;   in Loop: Header=BB39_9 Depth=1
	s_or_b64 exec, exec, s[4:5]
	v_mov_b32_e32 v21, s19
	v_add_co_u32_e64 v20, s[2:3], s18, v28
	v_addc_co_u32_e64 v21, s[2:3], v29, v21, s[2:3]
	v_cmp_gt_u64_e64 s[2:3], s[16:17], v[20:21]
	v_pk_mov_b32 v[20:21], 0, 0
	v_pk_mov_b32 v[24:25], v[20:21], v[20:21] op_sel:[0,1]
	s_and_saveexec_b64 s[6:7], s[2:3]
	s_cbranch_execz .LBB39_15
; %bb.14:                               ;   in Loop: Header=BB39_9 Depth=1
	v_mov_b32_e32 v25, s13
	v_add_co_u32_e64 v24, s[4:5], s12, v2
	v_addc_co_u32_e64 v25, s[4:5], v11, v25, s[4:5]
	global_load_dwordx2 v[24:25], v[24:25], off
.LBB39_15:                              ;   in Loop: Header=BB39_9 Depth=1
	s_or_b64 exec, exec, s[6:7]
	v_mov_b32_e32 v33, s19
	v_add_co_u32_e64 v32, s[4:5], s18, v26
	v_addc_co_u32_e64 v33, s[4:5], v27, v33, s[4:5]
	v_cmp_gt_u64_e64 s[4:5], s[16:17], v[32:33]
	s_and_saveexec_b64 s[20:21], s[4:5]
	s_cbranch_execz .LBB39_17
; %bb.16:                               ;   in Loop: Header=BB39_9 Depth=1
	v_mov_b32_e32 v21, s13
	v_add_co_u32_e64 v20, s[6:7], s12, v8
	v_addc_co_u32_e64 v21, s[6:7], v7, v21, s[6:7]
	global_load_dwordx2 v[20:21], v[20:21], off
.LBB39_17:                              ;   in Loop: Header=BB39_9 Depth=1
	s_or_b64 exec, exec, s[20:21]
	global_load_dwordx2 v[32:33], v3, s[8:9]
	s_waitcnt vmcnt(0)
	v_readfirstlane_b32 s20, v32
	s_mul_i32 s6, s20, s11
	s_mul_hi_u32 s7, s20, s10
	v_mul_lo_u32 v32, v33, s10
	s_add_i32 s7, s7, s6
	v_add_u32_e32 v32, s7, v32
	s_mul_i32 s20, s20, s10
	s_and_saveexec_b64 s[6:7], vcc
	s_cbranch_execnz .LBB39_21
; %bb.18:                               ;   in Loop: Header=BB39_9 Depth=1
	s_or_b64 exec, exec, s[6:7]
	s_and_saveexec_b64 s[6:7], s[0:1]
	s_cbranch_execnz .LBB39_22
.LBB39_19:                              ;   in Loop: Header=BB39_9 Depth=1
	s_or_b64 exec, exec, s[6:7]
	s_and_saveexec_b64 s[0:1], s[2:3]
	s_cbranch_execnz .LBB39_23
.LBB39_20:                              ;   in Loop: Header=BB39_9 Depth=1
	s_or_b64 exec, exec, s[0:1]
	s_and_saveexec_b64 s[0:1], s[4:5]
	s_cbranch_execz .LBB39_8
	s_branch .LBB39_24
.LBB39_21:                              ;   in Loop: Header=BB39_9 Depth=1
	v_mul_lo_u32 v33, v32, v22
	v_mul_lo_u32 v34, s20, v23
	v_mad_u64_u32 v[22:23], s[26:27], s20, v22, 0
	v_add3_u32 v23, v23, v34, v33
	v_mov_b32_e32 v33, s13
	v_add_co_u32_e32 v34, vcc, s12, v6
	v_addc_co_u32_e32 v35, vcc, v5, v33, vcc
	global_store_dwordx2 v[34:35], v[22:23], off
	s_or_b64 exec, exec, s[6:7]
	s_and_saveexec_b64 s[6:7], s[0:1]
	s_cbranch_execz .LBB39_19
.LBB39_22:                              ;   in Loop: Header=BB39_9 Depth=1
	v_mul_lo_u32 v22, v32, v18
	v_mul_lo_u32 v23, s20, v19
	v_mad_u64_u32 v[18:19], s[0:1], s20, v18, 0
	v_add3_u32 v19, v19, v23, v22
	v_mov_b32_e32 v23, s13
	v_add_co_u32_e32 v22, vcc, s12, v16
	v_addc_co_u32_e32 v23, vcc, v17, v23, vcc
	global_store_dwordx2 v[22:23], v[18:19], off
	s_or_b64 exec, exec, s[6:7]
	s_and_saveexec_b64 s[0:1], s[2:3]
	s_cbranch_execz .LBB39_20
.LBB39_23:                              ;   in Loop: Header=BB39_9 Depth=1
	v_mul_lo_u32 v22, v32, v24
	v_mul_lo_u32 v23, s20, v25
	v_mad_u64_u32 v[18:19], s[2:3], s20, v24, 0
	v_add3_u32 v19, v19, v23, v22
	v_mov_b32_e32 v23, s13
	v_add_co_u32_e32 v22, vcc, s12, v12
	v_addc_co_u32_e32 v23, vcc, v13, v23, vcc
	global_store_dwordx2 v[22:23], v[18:19], off
	s_or_b64 exec, exec, s[0:1]
	s_and_saveexec_b64 s[0:1], s[4:5]
	s_cbranch_execz .LBB39_8
.LBB39_24:                              ;   in Loop: Header=BB39_9 Depth=1
	v_mul_lo_u32 v22, v32, v20
	v_mul_lo_u32 v21, s20, v21
	v_mad_u64_u32 v[18:19], s[2:3], s20, v20, 0
	v_add3_u32 v19, v19, v21, v22
	v_mov_b32_e32 v21, s13
	v_add_co_u32_e32 v20, vcc, s12, v10
	v_addc_co_u32_e32 v21, vcc, v9, v21, vcc
	global_store_dwordx2 v[20:21], v[18:19], off
	s_branch .LBB39_8
.LBB39_25:
	s_endpgm
	.section	.rodata,"a",@progbits
	.p2align	6, 0x0
	.amdhsa_kernel _ZN2at6native12_GLOBAL__N_125multi_tensor_apply_kernelINS1_18TensorListMetadataILi2EEENS1_27BinaryOpScalarTensorFunctorIlLi2ELi1ELi1EEEJSt10multipliesIlEPllEEEvT_T0_DpT1_
		.amdhsa_group_segment_fixed_size 0
		.amdhsa_private_segment_fixed_size 0
		.amdhsa_kernarg_size 3424
		.amdhsa_user_sgpr_count 6
		.amdhsa_user_sgpr_private_segment_buffer 1
		.amdhsa_user_sgpr_dispatch_ptr 0
		.amdhsa_user_sgpr_queue_ptr 0
		.amdhsa_user_sgpr_kernarg_segment_ptr 1
		.amdhsa_user_sgpr_dispatch_id 0
		.amdhsa_user_sgpr_flat_scratch_init 0
		.amdhsa_user_sgpr_kernarg_preload_length 0
		.amdhsa_user_sgpr_kernarg_preload_offset 0
		.amdhsa_user_sgpr_private_segment_size 0
		.amdhsa_uses_dynamic_stack 0
		.amdhsa_system_sgpr_private_segment_wavefront_offset 0
		.amdhsa_system_sgpr_workgroup_id_x 1
		.amdhsa_system_sgpr_workgroup_id_y 0
		.amdhsa_system_sgpr_workgroup_id_z 0
		.amdhsa_system_sgpr_workgroup_info 0
		.amdhsa_system_vgpr_workitem_id 0
		.amdhsa_next_free_vgpr 36
		.amdhsa_next_free_sgpr 32
		.amdhsa_accum_offset 36
		.amdhsa_reserve_vcc 1
		.amdhsa_reserve_flat_scratch 0
		.amdhsa_float_round_mode_32 0
		.amdhsa_float_round_mode_16_64 0
		.amdhsa_float_denorm_mode_32 3
		.amdhsa_float_denorm_mode_16_64 3
		.amdhsa_dx10_clamp 1
		.amdhsa_ieee_mode 1
		.amdhsa_fp16_overflow 0
		.amdhsa_tg_split 0
		.amdhsa_exception_fp_ieee_invalid_op 0
		.amdhsa_exception_fp_denorm_src 0
		.amdhsa_exception_fp_ieee_div_zero 0
		.amdhsa_exception_fp_ieee_overflow 0
		.amdhsa_exception_fp_ieee_underflow 0
		.amdhsa_exception_fp_ieee_inexact 0
		.amdhsa_exception_int_div_zero 0
	.end_amdhsa_kernel
	.section	.text._ZN2at6native12_GLOBAL__N_125multi_tensor_apply_kernelINS1_18TensorListMetadataILi2EEENS1_27BinaryOpScalarTensorFunctorIlLi2ELi1ELi1EEEJSt10multipliesIlEPllEEEvT_T0_DpT1_,"axG",@progbits,_ZN2at6native12_GLOBAL__N_125multi_tensor_apply_kernelINS1_18TensorListMetadataILi2EEENS1_27BinaryOpScalarTensorFunctorIlLi2ELi1ELi1EEEJSt10multipliesIlEPllEEEvT_T0_DpT1_,comdat
.Lfunc_end39:
	.size	_ZN2at6native12_GLOBAL__N_125multi_tensor_apply_kernelINS1_18TensorListMetadataILi2EEENS1_27BinaryOpScalarTensorFunctorIlLi2ELi1ELi1EEEJSt10multipliesIlEPllEEEvT_T0_DpT1_, .Lfunc_end39-_ZN2at6native12_GLOBAL__N_125multi_tensor_apply_kernelINS1_18TensorListMetadataILi2EEENS1_27BinaryOpScalarTensorFunctorIlLi2ELi1ELi1EEEJSt10multipliesIlEPllEEEvT_T0_DpT1_
                                        ; -- End function
	.section	.AMDGPU.csdata,"",@progbits
; Kernel info:
; codeLenInByte = 1580
; NumSgprs: 36
; NumVgprs: 36
; NumAgprs: 0
; TotalNumVgprs: 36
; ScratchSize: 0
; MemoryBound: 0
; FloatMode: 240
; IeeeMode: 1
; LDSByteSize: 0 bytes/workgroup (compile time only)
; SGPRBlocks: 4
; VGPRBlocks: 4
; NumSGPRsForWavesPerEU: 36
; NumVGPRsForWavesPerEU: 36
; AccumOffset: 36
; Occupancy: 8
; WaveLimiterHint : 0
; COMPUTE_PGM_RSRC2:SCRATCH_EN: 0
; COMPUTE_PGM_RSRC2:USER_SGPR: 6
; COMPUTE_PGM_RSRC2:TRAP_HANDLER: 0
; COMPUTE_PGM_RSRC2:TGID_X_EN: 1
; COMPUTE_PGM_RSRC2:TGID_Y_EN: 0
; COMPUTE_PGM_RSRC2:TGID_Z_EN: 0
; COMPUTE_PGM_RSRC2:TIDIG_COMP_CNT: 0
; COMPUTE_PGM_RSRC3_GFX90A:ACCUM_OFFSET: 8
; COMPUTE_PGM_RSRC3_GFX90A:TG_SPLIT: 0
	.section	.text._ZN2at6native12_GLOBAL__N_125multi_tensor_apply_kernelINS1_18TensorListMetadataILi2EEENS1_27BinaryOpScalarTensorFunctorIsLi2ELi1ELi1EEEJSt10multipliesIsEPssEEEvT_T0_DpT1_,"axG",@progbits,_ZN2at6native12_GLOBAL__N_125multi_tensor_apply_kernelINS1_18TensorListMetadataILi2EEENS1_27BinaryOpScalarTensorFunctorIsLi2ELi1ELi1EEEJSt10multipliesIsEPssEEEvT_T0_DpT1_,comdat
	.globl	_ZN2at6native12_GLOBAL__N_125multi_tensor_apply_kernelINS1_18TensorListMetadataILi2EEENS1_27BinaryOpScalarTensorFunctorIsLi2ELi1ELi1EEEJSt10multipliesIsEPssEEEvT_T0_DpT1_ ; -- Begin function _ZN2at6native12_GLOBAL__N_125multi_tensor_apply_kernelINS1_18TensorListMetadataILi2EEENS1_27BinaryOpScalarTensorFunctorIsLi2ELi1ELi1EEEJSt10multipliesIsEPssEEEvT_T0_DpT1_
	.p2align	8
	.type	_ZN2at6native12_GLOBAL__N_125multi_tensor_apply_kernelINS1_18TensorListMetadataILi2EEENS1_27BinaryOpScalarTensorFunctorIsLi2ELi1ELi1EEEJSt10multipliesIsEPssEEEvT_T0_DpT1_,@function
_ZN2at6native12_GLOBAL__N_125multi_tensor_apply_kernelINS1_18TensorListMetadataILi2EEENS1_27BinaryOpScalarTensorFunctorIsLi2ELi1ELi1EEEJSt10multipliesIsEPssEEEvT_T0_DpT1_: ; @_ZN2at6native12_GLOBAL__N_125multi_tensor_apply_kernelINS1_18TensorListMetadataILi2EEENS1_27BinaryOpScalarTensorFunctorIsLi2ELi1ELi1EEEJSt10multipliesIsEPssEEEvT_T0_DpT1_
; %bb.0:
	v_mov_b32_e32 v1, s6
	global_load_ubyte v1, v1, s[4:5] offset:1536
	s_load_dword s22, s[4:5], 0xc58
	s_add_u32 s0, s4, s6
	s_mul_hi_u32 s2, s6, 3
	s_mul_i32 s6, s6, 3
	s_addc_u32 s7, s5, 0
	s_add_u32 s6, s0, s6
	s_addc_u32 s7, s7, s2
	s_load_dword s12, s[6:7], 0x740
	s_mov_b32 s1, 0
	s_mov_b32 s19, s1
	;; [unrolled: 1-line block ×3, first 2 shown]
	s_waitcnt lgkmcnt(0)
	s_ashr_i32 s13, s12, 31
	s_lshl_b64 s[10:11], s[12:13], 17
	s_lshl_b64 s[12:13], s[12:13], 16
	s_waitcnt vmcnt(0)
	v_readfirstlane_b32 s0, v1
	s_lshl_b32 s0, s0, 3
	s_load_dwordx2 s[16:17], s[4:5], s0 offset:0x0
	s_load_dwordx2 s[8:9], s[4:5], 0xc50
	s_load_dwordx2 s[14:15], s[4:5], s0 offset:0x400
	s_load_dwordx2 s[6:7], s[4:5], s0 offset:0x200
	s_waitcnt lgkmcnt(0)
	s_and_b32 s0, s16, 7
	s_and_b32 s18, s14, 3
	;; [unrolled: 1-line block ×3, first 2 shown]
	s_or_b64 s[18:19], s[0:1], s[18:19]
	s_or_b64 s[2:3], s[2:3], s[18:19]
	s_sub_u32 s12, s14, s12
	s_subb_u32 s13, s15, s13
	s_cmp_eq_u64 s[2:3], 0
	s_mov_b64 s[2:3], -1
	s_cbranch_scc0 .LBB40_5
; %bb.1:
	v_mov_b32_e32 v3, 0
	v_lshlrev_b32_e32 v2, 2, v0
	v_cmp_gt_i64_e32 vcc, s[12:13], v[2:3]
	s_and_saveexec_b64 s[14:15], vcc
	s_cbranch_execz .LBB40_4
; %bb.2:
	s_load_dword s0, s[4:5], 0xc6c
	v_lshlrev_b32_e32 v1, 3, v0
	v_mov_b32_e32 v2, s11
	v_add_co_u32_e32 v4, vcc, s10, v1
	s_waitcnt lgkmcnt(0)
	s_and_b32 s0, s0, 0xffff
	v_addc_co_u32_e32 v1, vcc, 0, v2, vcc
	v_add_lshl_u32 v2, v0, s0, 2
	s_and_b32 s23, 0xffff, s22
	s_lshl_b32 s24, s0, 3
	s_lshl_b32 s25, s0, 2
	s_mov_b64 s[18:19], 0
	v_mov_b32_e32 v5, s17
	v_mov_b32_e32 v8, s7
	s_mov_b64 s[20:21], 0xffff
	v_mov_b32_e32 v9, s1
	v_mov_b32_e32 v10, s1
	v_pk_mov_b32 v[6:7], v[2:3], v[2:3] op_sel:[0,1]
.LBB40_3:                               ; =>This Inner Loop Header: Depth=1
	v_add_co_u32_e32 v12, vcc, s16, v4
	v_addc_co_u32_e32 v13, vcc, v5, v1, vcc
	global_load_ushort v2, v3, s[8:9]
	global_load_dwordx2 v[14:15], v[12:13], off
	v_add_co_u32_e32 v12, vcc, s6, v4
	v_addc_co_u32_e32 v13, vcc, v8, v1, vcc
	v_cmp_le_i64_e32 vcc, s[12:13], v[6:7]
	v_cmp_lt_u64_e64 s[0:1], s[20:21], v[6:7]
	v_add_co_u32_e64 v4, s[2:3], s24, v4
	v_addc_co_u32_e64 v1, s[2:3], v1, v9, s[2:3]
	s_or_b64 s[0:1], vcc, s[0:1]
	v_add_co_u32_e64 v6, s[2:3], s25, v6
	s_and_b64 s[0:1], exec, s[0:1]
	v_addc_co_u32_e64 v7, s[2:3], v7, v10, s[2:3]
	s_or_b64 s[18:19], s[0:1], s[18:19]
	s_waitcnt vmcnt(1)
	v_mul_lo_u32 v2, v2, s23
	s_waitcnt vmcnt(0)
	v_mul_lo_u16_sdwa v11, v2, v14 dst_sel:WORD_1 dst_unused:UNUSED_PAD src0_sel:DWORD src1_sel:WORD_1
	v_mul_lo_u16_sdwa v16, v2, v15 dst_sel:WORD_1 dst_unused:UNUSED_PAD src0_sel:DWORD src1_sel:WORD_1
	v_mul_lo_u16_e32 v15, v2, v15
	v_mul_lo_u16_e32 v2, v2, v14
	v_or_b32_e32 v15, v16, v15
	v_or_b32_e32 v14, v11, v2
	global_store_dwordx2 v[12:13], v[14:15], off
	s_andn2_b64 exec, exec, s[18:19]
	s_cbranch_execnz .LBB40_3
.LBB40_4:
	s_or_b64 exec, exec, s[14:15]
	s_mov_b64 s[2:3], 0
.LBB40_5:
	s_andn2_b64 vcc, exec, s[2:3]
	s_cbranch_vccnz .LBB40_25
; %bb.6:
	v_cmp_lt_i64_e64 s[0:1], s[12:13], 1
	s_and_b64 vcc, exec, s[0:1]
	s_cbranch_vccnz .LBB40_25
; %bb.7:
	s_load_dword s0, s[4:5], 0xc6c
	v_mov_b32_e32 v4, 0x10000
	v_mov_b32_e32 v5, 0
	v_cmp_lt_u64_e32 vcc, s[12:13], v[4:5]
	v_lshlrev_b32_e32 v2, 1, v0
	s_waitcnt lgkmcnt(0)
	s_and_b32 s2, s0, 0xffff
	s_and_b64 s[0:1], vcc, exec
	v_mov_b32_e32 v15, s17
	v_add_co_u32_e32 v4, vcc, s16, v2
	v_addc_co_u32_e32 v1, vcc, 0, v15, vcc
	v_mov_b32_e32 v3, 0
	v_mov_b32_e32 v17, s7
	v_add_co_u32_e32 v6, vcc, s6, v2
	v_addc_co_u32_e32 v5, vcc, 0, v17, vcc
	v_mad_u64_u32 v[10:11], s[0:1], s2, 6, v[2:3]
	v_add_co_u32_e32 v8, vcc, s16, v10
	v_addc_co_u32_e32 v7, vcc, v15, v11, vcc
	v_add_co_u32_e32 v10, vcc, s6, v10
	s_mul_i32 s4, s2, 3
	v_addc_co_u32_e32 v9, vcc, v17, v11, vcc
	s_cselect_b32 s15, s13, 0
	s_cselect_b32 s14, s12, 0x10000
	s_lshl_b32 s21, s2, 2
	v_add_co_u32_e32 v18, vcc, s4, v0
	v_addc_co_u32_e64 v19, s[0:1], 0, 0, vcc
	v_add_co_u32_e32 v12, vcc, s21, v2
	v_addc_co_u32_e64 v13, s[0:1], 0, 0, vcc
	v_add_co_u32_e32 v2, vcc, s16, v12
	v_addc_co_u32_e32 v11, vcc, v15, v13, vcc
	v_add_co_u32_e32 v12, vcc, s6, v12
	s_lshl_b32 s3, s2, 1
	v_addc_co_u32_e32 v13, vcc, v17, v13, vcc
	v_add_co_u32_e32 v20, vcc, s3, v0
	v_addc_co_u32_e64 v21, s[0:1], 0, 0, vcc
	v_add_co_u32_e32 v22, vcc, s2, v0
	v_lshlrev_b32_e32 v16, 1, v22
	v_addc_co_u32_e64 v23, s[0:1], 0, 0, vcc
	v_add_co_u32_e32 v14, vcc, s16, v16
	v_addc_co_u32_e32 v15, vcc, 0, v15, vcc
	v_add_co_u32_e32 v16, vcc, s6, v16
	s_mov_b32 s20, 0
	s_and_b32 s22, 0xffff, s22
	s_lshl_b32 s23, s2, 3
	v_addc_co_u32_e32 v17, vcc, 0, v17, vcc
	s_mov_b64 s[16:17], 0
	s_branch .LBB40_9
.LBB40_8:                               ;   in Loop: Header=BB40_9 Depth=1
	s_or_b64 exec, exec, s[0:1]
	s_add_u32 s16, s16, s21
	s_addc_u32 s17, s17, 0
	v_pk_mov_b32 v[24:25], s[12:13], s[12:13] op_sel:[0,1]
	v_cmp_ge_i64_e32 vcc, s[16:17], v[24:25]
	v_mov_b32_e32 v24, 0xffff
	v_mov_b32_e32 v25, 0
	v_cmp_gt_u64_e64 s[0:1], s[16:17], v[24:25]
	s_or_b64 s[0:1], vcc, s[0:1]
	v_mov_b32_e32 v24, s20
	v_add_co_u32_e32 v4, vcc, s23, v4
	v_addc_co_u32_e32 v1, vcc, v1, v24, vcc
	v_add_co_u32_e32 v6, vcc, s23, v6
	v_addc_co_u32_e32 v5, vcc, v5, v24, vcc
	;; [unrolled: 2-line block ×8, first 2 shown]
	s_and_b64 vcc, exec, s[0:1]
	s_cbranch_vccnz .LBB40_25
.LBB40_9:                               ; =>This Inner Loop Header: Depth=1
	v_mov_b32_e32 v25, s17
	v_add_co_u32_e32 v24, vcc, s16, v0
	v_addc_co_u32_e32 v25, vcc, 0, v25, vcc
	v_cmp_gt_u64_e32 vcc, s[14:15], v[24:25]
	v_mov_b32_e32 v25, 0
	s_and_saveexec_b64 s[2:3], vcc
	s_cbranch_execz .LBB40_11
; %bb.10:                               ;   in Loop: Header=BB40_9 Depth=1
	v_mov_b32_e32 v25, s11
	v_add_co_u32_e64 v24, s[0:1], s10, v4
	v_addc_co_u32_e64 v25, s[0:1], v1, v25, s[0:1]
	global_load_ushort v25, v[24:25], off
.LBB40_11:                              ;   in Loop: Header=BB40_9 Depth=1
	s_or_b64 exec, exec, s[2:3]
	v_mov_b32_e32 v24, s17
	v_add_co_u32_e64 v26, s[0:1], s16, v22
	v_addc_co_u32_e64 v27, s[0:1], v23, v24, s[0:1]
	v_cmp_gt_u64_e64 s[0:1], s[14:15], v[26:27]
	v_mov_b32_e32 v24, 0
	v_mov_b32_e32 v26, 0
	s_and_saveexec_b64 s[4:5], s[0:1]
	s_cbranch_execz .LBB40_13
; %bb.12:                               ;   in Loop: Header=BB40_9 Depth=1
	v_mov_b32_e32 v27, s11
	v_add_co_u32_e64 v26, s[2:3], s10, v14
	v_addc_co_u32_e64 v27, s[2:3], v15, v27, s[2:3]
	global_load_ushort v26, v[26:27], off
.LBB40_13:                              ;   in Loop: Header=BB40_9 Depth=1
	s_or_b64 exec, exec, s[4:5]
	v_mov_b32_e32 v27, s17
	v_add_co_u32_e64 v28, s[2:3], s16, v20
	v_addc_co_u32_e64 v29, s[2:3], v21, v27, s[2:3]
	v_cmp_gt_u64_e64 s[2:3], s[14:15], v[28:29]
	s_and_saveexec_b64 s[6:7], s[2:3]
	s_cbranch_execz .LBB40_15
; %bb.14:                               ;   in Loop: Header=BB40_9 Depth=1
	v_mov_b32_e32 v24, s11
	v_add_co_u32_e64 v28, s[4:5], s10, v2
	v_addc_co_u32_e64 v29, s[4:5], v11, v24, s[4:5]
	global_load_ushort v24, v[28:29], off
.LBB40_15:                              ;   in Loop: Header=BB40_9 Depth=1
	s_or_b64 exec, exec, s[6:7]
	v_mov_b32_e32 v27, s17
	v_add_co_u32_e64 v28, s[4:5], s16, v18
	v_addc_co_u32_e64 v29, s[4:5], v19, v27, s[4:5]
	v_cmp_gt_u64_e64 s[4:5], s[14:15], v[28:29]
	v_mov_b32_e32 v27, 0
	s_and_saveexec_b64 s[18:19], s[4:5]
	s_cbranch_execz .LBB40_17
; %bb.16:                               ;   in Loop: Header=BB40_9 Depth=1
	v_mov_b32_e32 v27, s11
	v_add_co_u32_e64 v28, s[6:7], s10, v8
	v_addc_co_u32_e64 v29, s[6:7], v7, v27, s[6:7]
	global_load_ushort v27, v[28:29], off
.LBB40_17:                              ;   in Loop: Header=BB40_9 Depth=1
	s_or_b64 exec, exec, s[18:19]
	global_load_ushort v28, v3, s[8:9]
	s_waitcnt vmcnt(0)
	v_mul_lo_u32 v28, v28, s22
	s_and_saveexec_b64 s[6:7], vcc
	s_cbranch_execnz .LBB40_21
; %bb.18:                               ;   in Loop: Header=BB40_9 Depth=1
	s_or_b64 exec, exec, s[6:7]
	s_and_saveexec_b64 s[6:7], s[0:1]
	s_cbranch_execnz .LBB40_22
.LBB40_19:                              ;   in Loop: Header=BB40_9 Depth=1
	s_or_b64 exec, exec, s[6:7]
	s_and_saveexec_b64 s[0:1], s[2:3]
	s_cbranch_execnz .LBB40_23
.LBB40_20:                              ;   in Loop: Header=BB40_9 Depth=1
	s_or_b64 exec, exec, s[0:1]
	s_and_saveexec_b64 s[0:1], s[4:5]
	s_cbranch_execz .LBB40_8
	s_branch .LBB40_24
.LBB40_21:                              ;   in Loop: Header=BB40_9 Depth=1
	v_mov_b32_e32 v29, s11
	v_add_co_u32_e32 v30, vcc, s10, v6
	v_addc_co_u32_e32 v31, vcc, v5, v29, vcc
	v_mul_lo_u16_e32 v25, v28, v25
	global_store_short v[30:31], v25, off
	s_or_b64 exec, exec, s[6:7]
	s_and_saveexec_b64 s[6:7], s[0:1]
	s_cbranch_execz .LBB40_19
.LBB40_22:                              ;   in Loop: Header=BB40_9 Depth=1
	v_mul_lo_u16_e32 v25, v28, v26
	v_mov_b32_e32 v26, s11
	v_add_co_u32_e32 v30, vcc, s10, v16
	v_addc_co_u32_e32 v31, vcc, v17, v26, vcc
	global_store_short v[30:31], v25, off
	s_or_b64 exec, exec, s[6:7]
	s_and_saveexec_b64 s[0:1], s[2:3]
	s_cbranch_execz .LBB40_20
.LBB40_23:                              ;   in Loop: Header=BB40_9 Depth=1
	v_mul_lo_u16_e32 v26, v28, v24
	v_mov_b32_e32 v25, s11
	v_add_co_u32_e32 v24, vcc, s10, v12
	v_addc_co_u32_e32 v25, vcc, v13, v25, vcc
	global_store_short v[24:25], v26, off
	s_or_b64 exec, exec, s[0:1]
	s_and_saveexec_b64 s[0:1], s[4:5]
	s_cbranch_execz .LBB40_8
.LBB40_24:                              ;   in Loop: Header=BB40_9 Depth=1
	v_mov_b32_e32 v25, s11
	v_add_co_u32_e32 v24, vcc, s10, v10
	v_mul_lo_u16_e32 v26, v28, v27
	v_addc_co_u32_e32 v25, vcc, v9, v25, vcc
	global_store_short v[24:25], v26, off
	s_branch .LBB40_8
.LBB40_25:
	s_endpgm
	.section	.rodata,"a",@progbits
	.p2align	6, 0x0
	.amdhsa_kernel _ZN2at6native12_GLOBAL__N_125multi_tensor_apply_kernelINS1_18TensorListMetadataILi2EEENS1_27BinaryOpScalarTensorFunctorIsLi2ELi1ELi1EEEJSt10multipliesIsEPssEEEvT_T0_DpT1_
		.amdhsa_group_segment_fixed_size 0
		.amdhsa_private_segment_fixed_size 0
		.amdhsa_kernarg_size 3424
		.amdhsa_user_sgpr_count 6
		.amdhsa_user_sgpr_private_segment_buffer 1
		.amdhsa_user_sgpr_dispatch_ptr 0
		.amdhsa_user_sgpr_queue_ptr 0
		.amdhsa_user_sgpr_kernarg_segment_ptr 1
		.amdhsa_user_sgpr_dispatch_id 0
		.amdhsa_user_sgpr_flat_scratch_init 0
		.amdhsa_user_sgpr_kernarg_preload_length 0
		.amdhsa_user_sgpr_kernarg_preload_offset 0
		.amdhsa_user_sgpr_private_segment_size 0
		.amdhsa_uses_dynamic_stack 0
		.amdhsa_system_sgpr_private_segment_wavefront_offset 0
		.amdhsa_system_sgpr_workgroup_id_x 1
		.amdhsa_system_sgpr_workgroup_id_y 0
		.amdhsa_system_sgpr_workgroup_id_z 0
		.amdhsa_system_sgpr_workgroup_info 0
		.amdhsa_system_vgpr_workitem_id 0
		.amdhsa_next_free_vgpr 32
		.amdhsa_next_free_sgpr 26
		.amdhsa_accum_offset 32
		.amdhsa_reserve_vcc 1
		.amdhsa_reserve_flat_scratch 0
		.amdhsa_float_round_mode_32 0
		.amdhsa_float_round_mode_16_64 0
		.amdhsa_float_denorm_mode_32 3
		.amdhsa_float_denorm_mode_16_64 3
		.amdhsa_dx10_clamp 1
		.amdhsa_ieee_mode 1
		.amdhsa_fp16_overflow 0
		.amdhsa_tg_split 0
		.amdhsa_exception_fp_ieee_invalid_op 0
		.amdhsa_exception_fp_denorm_src 0
		.amdhsa_exception_fp_ieee_div_zero 0
		.amdhsa_exception_fp_ieee_overflow 0
		.amdhsa_exception_fp_ieee_underflow 0
		.amdhsa_exception_fp_ieee_inexact 0
		.amdhsa_exception_int_div_zero 0
	.end_amdhsa_kernel
	.section	.text._ZN2at6native12_GLOBAL__N_125multi_tensor_apply_kernelINS1_18TensorListMetadataILi2EEENS1_27BinaryOpScalarTensorFunctorIsLi2ELi1ELi1EEEJSt10multipliesIsEPssEEEvT_T0_DpT1_,"axG",@progbits,_ZN2at6native12_GLOBAL__N_125multi_tensor_apply_kernelINS1_18TensorListMetadataILi2EEENS1_27BinaryOpScalarTensorFunctorIsLi2ELi1ELi1EEEJSt10multipliesIsEPssEEEvT_T0_DpT1_,comdat
.Lfunc_end40:
	.size	_ZN2at6native12_GLOBAL__N_125multi_tensor_apply_kernelINS1_18TensorListMetadataILi2EEENS1_27BinaryOpScalarTensorFunctorIsLi2ELi1ELi1EEEJSt10multipliesIsEPssEEEvT_T0_DpT1_, .Lfunc_end40-_ZN2at6native12_GLOBAL__N_125multi_tensor_apply_kernelINS1_18TensorListMetadataILi2EEENS1_27BinaryOpScalarTensorFunctorIsLi2ELi1ELi1EEEJSt10multipliesIsEPssEEEvT_T0_DpT1_
                                        ; -- End function
	.section	.AMDGPU.csdata,"",@progbits
; Kernel info:
; codeLenInByte = 1304
; NumSgprs: 30
; NumVgprs: 32
; NumAgprs: 0
; TotalNumVgprs: 32
; ScratchSize: 0
; MemoryBound: 0
; FloatMode: 240
; IeeeMode: 1
; LDSByteSize: 0 bytes/workgroup (compile time only)
; SGPRBlocks: 3
; VGPRBlocks: 3
; NumSGPRsForWavesPerEU: 30
; NumVGPRsForWavesPerEU: 32
; AccumOffset: 32
; Occupancy: 8
; WaveLimiterHint : 0
; COMPUTE_PGM_RSRC2:SCRATCH_EN: 0
; COMPUTE_PGM_RSRC2:USER_SGPR: 6
; COMPUTE_PGM_RSRC2:TRAP_HANDLER: 0
; COMPUTE_PGM_RSRC2:TGID_X_EN: 1
; COMPUTE_PGM_RSRC2:TGID_Y_EN: 0
; COMPUTE_PGM_RSRC2:TGID_Z_EN: 0
; COMPUTE_PGM_RSRC2:TIDIG_COMP_CNT: 0
; COMPUTE_PGM_RSRC3_GFX90A:ACCUM_OFFSET: 7
; COMPUTE_PGM_RSRC3_GFX90A:TG_SPLIT: 0
	.section	.text._ZN2at6native12_GLOBAL__N_125multi_tensor_apply_kernelINS1_18TensorListMetadataILi2EEENS1_27BinaryOpScalarTensorFunctorIdLi2ELi1ELi1EEEJSt10multipliesIdEPddEEEvT_T0_DpT1_,"axG",@progbits,_ZN2at6native12_GLOBAL__N_125multi_tensor_apply_kernelINS1_18TensorListMetadataILi2EEENS1_27BinaryOpScalarTensorFunctorIdLi2ELi1ELi1EEEJSt10multipliesIdEPddEEEvT_T0_DpT1_,comdat
	.globl	_ZN2at6native12_GLOBAL__N_125multi_tensor_apply_kernelINS1_18TensorListMetadataILi2EEENS1_27BinaryOpScalarTensorFunctorIdLi2ELi1ELi1EEEJSt10multipliesIdEPddEEEvT_T0_DpT1_ ; -- Begin function _ZN2at6native12_GLOBAL__N_125multi_tensor_apply_kernelINS1_18TensorListMetadataILi2EEENS1_27BinaryOpScalarTensorFunctorIdLi2ELi1ELi1EEEJSt10multipliesIdEPddEEEvT_T0_DpT1_
	.p2align	8
	.type	_ZN2at6native12_GLOBAL__N_125multi_tensor_apply_kernelINS1_18TensorListMetadataILi2EEENS1_27BinaryOpScalarTensorFunctorIdLi2ELi1ELi1EEEJSt10multipliesIdEPddEEEvT_T0_DpT1_,@function
_ZN2at6native12_GLOBAL__N_125multi_tensor_apply_kernelINS1_18TensorListMetadataILi2EEENS1_27BinaryOpScalarTensorFunctorIdLi2ELi1ELi1EEEJSt10multipliesIdEPddEEEvT_T0_DpT1_: ; @_ZN2at6native12_GLOBAL__N_125multi_tensor_apply_kernelINS1_18TensorListMetadataILi2EEENS1_27BinaryOpScalarTensorFunctorIdLi2ELi1ELi1EEEJSt10multipliesIdEPddEEEvT_T0_DpT1_
; %bb.0:
	v_mov_b32_e32 v1, s6
	global_load_ubyte v1, v1, s[4:5] offset:1536
	s_load_dwordx4 s[8:11], s[4:5], 0xc50
	s_add_u32 s0, s4, s6
	s_mul_hi_u32 s2, s6, 3
	s_mul_i32 s6, s6, 3
	s_addc_u32 s7, s5, 0
	s_add_u32 s6, s0, s6
	s_addc_u32 s7, s7, s2
	s_load_dword s14, s[6:7], 0x740
	s_mov_b32 s1, 0
	s_mov_b32 s17, s1
	;; [unrolled: 1-line block ×3, first 2 shown]
	s_waitcnt vmcnt(0)
	v_readfirstlane_b32 s0, v1
	s_lshl_b32 s0, s0, 3
	s_load_dwordx2 s[18:19], s[4:5], s0 offset:0x0
	s_load_dwordx2 s[20:21], s[4:5], s0 offset:0x400
	;; [unrolled: 1-line block ×3, first 2 shown]
	s_waitcnt lgkmcnt(0)
	s_ashr_i32 s15, s14, 31
	s_lshl_b64 s[12:13], s[14:15], 19
	s_add_u32 s24, s18, s12
	s_addc_u32 s25, s19, s13
	s_and_b32 s0, s24, 31
	s_add_u32 s26, s6, s12
	s_addc_u32 s27, s7, s13
	s_and_b32 s16, s20, 3
	s_and_b32 s2, s26, 31
	s_or_b64 s[16:17], s[0:1], s[16:17]
	s_or_b64 s[2:3], s[2:3], s[16:17]
	s_lshl_b64 s[14:15], s[14:15], 16
	s_sub_u32 s14, s20, s14
	s_subb_u32 s15, s21, s15
	s_cmp_eq_u64 s[2:3], 0
	s_mov_b64 s[2:3], -1
	s_cbranch_scc0 .LBB41_5
; %bb.1:
	v_mov_b32_e32 v3, 0
	v_lshlrev_b32_e32 v2, 2, v0
	v_cmp_gt_i64_e32 vcc, s[14:15], v[2:3]
	s_and_saveexec_b64 s[16:17], vcc
	s_cbranch_execz .LBB41_4
; %bb.2:
	s_load_dword s0, s[4:5], 0xc6c
	v_lshlrev_b32_e32 v4, 5, v0
	s_mov_b64 s[20:21], 0
	s_mov_b64 s[22:23], 0xffff
	v_mov_b32_e32 v1, s1
	s_waitcnt lgkmcnt(0)
	s_and_b32 s0, s0, 0xffff
	v_add_lshl_u32 v2, v0, s0, 2
	s_lshl_b32 s28, s0, 2
	s_lshl_b32 s29, s0, 5
	v_pk_mov_b32 v[6:7], v[2:3], v[2:3] op_sel:[0,1]
.LBB41_3:                               ; =>This Inner Loop Header: Depth=1
	v_mov_b32_e32 v2, s25
	global_load_dwordx2 v[16:17], v3, s[8:9]
	v_add_co_u32_e32 v18, vcc, s24, v4
	v_addc_co_u32_e32 v19, vcc, 0, v2, vcc
	global_load_dwordx4 v[8:11], v[18:19], off
	global_load_dwordx4 v[12:15], v[18:19], off offset:16
	v_cmp_le_i64_e32 vcc, s[14:15], v[6:7]
	v_cmp_lt_u64_e64 s[0:1], s[22:23], v[6:7]
	s_or_b64 s[0:1], vcc, s[0:1]
	v_add_co_u32_e64 v6, s[2:3], s28, v6
	s_add_u32 s24, s24, s29
	v_addc_co_u32_e64 v7, s[2:3], v7, v1, s[2:3]
	s_addc_u32 s25, s25, 0
	v_add_co_u32_e64 v18, s[2:3], s26, v4
	s_add_u32 s26, s26, s29
	v_mov_b32_e32 v2, s27
	s_addc_u32 s27, s27, 0
	s_and_b64 s[0:1], exec, s[0:1]
	v_addc_co_u32_e64 v19, s[2:3], 0, v2, s[2:3]
	s_or_b64 s[20:21], s[0:1], s[20:21]
	s_waitcnt vmcnt(2)
	v_mul_f64 v[16:17], v[16:17], s[10:11]
	s_waitcnt vmcnt(1)
	v_mul_f64 v[8:9], v[8:9], v[16:17]
	v_mul_f64 v[10:11], v[10:11], v[16:17]
	s_waitcnt vmcnt(0)
	v_mul_f64 v[12:13], v[12:13], v[16:17]
	v_mul_f64 v[14:15], v[14:15], v[16:17]
	global_store_dwordx4 v[18:19], v[8:11], off
	global_store_dwordx4 v[18:19], v[12:15], off offset:16
	s_andn2_b64 exec, exec, s[20:21]
	s_cbranch_execnz .LBB41_3
.LBB41_4:
	s_or_b64 exec, exec, s[16:17]
	s_mov_b64 s[2:3], 0
.LBB41_5:
	s_andn2_b64 vcc, exec, s[2:3]
	s_cbranch_vccnz .LBB41_25
; %bb.6:
	v_cmp_lt_i64_e64 s[0:1], s[14:15], 1
	s_and_b64 vcc, exec, s[0:1]
	s_cbranch_vccnz .LBB41_25
; %bb.7:
	s_load_dword s0, s[4:5], 0xc6c
	v_mov_b32_e32 v4, 0x10000
	v_mov_b32_e32 v5, 0
	v_cmp_lt_u64_e32 vcc, s[14:15], v[4:5]
	v_lshlrev_b32_e32 v2, 3, v0
	s_waitcnt lgkmcnt(0)
	s_and_b32 s2, s0, 0xffff
	s_and_b64 s[0:1], vcc, exec
	v_mov_b32_e32 v15, s19
	v_add_co_u32_e32 v4, vcc, s18, v2
	v_addc_co_u32_e32 v1, vcc, 0, v15, vcc
	v_mov_b32_e32 v3, 0
	v_mov_b32_e32 v17, s7
	v_add_co_u32_e32 v6, vcc, s6, v2
	v_addc_co_u32_e32 v5, vcc, 0, v17, vcc
	v_mad_u64_u32 v[10:11], s[0:1], s2, 24, v[2:3]
	v_add_co_u32_e32 v8, vcc, s18, v10
	v_addc_co_u32_e32 v7, vcc, v15, v11, vcc
	v_add_co_u32_e32 v10, vcc, s6, v10
	s_mul_i32 s4, s2, 3
	v_addc_co_u32_e32 v9, vcc, v17, v11, vcc
	v_add_co_u32_e32 v28, vcc, s4, v0
	v_addc_co_u32_e64 v29, s[0:1], 0, 0, vcc
	s_cselect_b32 s17, s15, 0
	s_cselect_b32 s16, s14, 0x10000
	s_lshl_b32 s0, s2, 4
	v_add_co_u32_e32 v12, vcc, s0, v2
	v_addc_co_u32_e64 v13, s[0:1], 0, 0, vcc
	v_add_co_u32_e32 v2, vcc, s18, v12
	v_addc_co_u32_e32 v11, vcc, v15, v13, vcc
	v_add_co_u32_e32 v12, vcc, s6, v12
	s_lshl_b32 s3, s2, 1
	v_addc_co_u32_e32 v13, vcc, v17, v13, vcc
	v_add_co_u32_e32 v30, vcc, s3, v0
	v_addc_co_u32_e64 v31, s[0:1], 0, 0, vcc
	v_add_co_u32_e32 v32, vcc, s2, v0
	v_lshlrev_b32_e32 v16, 3, v32
	v_addc_co_u32_e64 v33, s[0:1], 0, 0, vcc
	v_add_co_u32_e32 v14, vcc, s18, v16
	v_addc_co_u32_e32 v15, vcc, 0, v15, vcc
	v_add_co_u32_e32 v16, vcc, s6, v16
	s_mov_b32 s22, 0
	s_lshl_b32 s23, s2, 2
	s_lshl_b32 s24, s2, 5
	v_addc_co_u32_e32 v17, vcc, 0, v17, vcc
	s_mov_b64 s[18:19], 0
	s_branch .LBB41_9
.LBB41_8:                               ;   in Loop: Header=BB41_9 Depth=1
	s_or_b64 exec, exec, s[0:1]
	s_add_u32 s18, s18, s23
	s_addc_u32 s19, s19, 0
	v_pk_mov_b32 v[18:19], s[14:15], s[14:15] op_sel:[0,1]
	v_cmp_ge_i64_e32 vcc, s[18:19], v[18:19]
	v_mov_b32_e32 v18, 0xffff
	v_mov_b32_e32 v19, 0
	v_cmp_gt_u64_e64 s[0:1], s[18:19], v[18:19]
	s_or_b64 s[0:1], vcc, s[0:1]
	v_mov_b32_e32 v18, s22
	v_add_co_u32_e32 v4, vcc, s24, v4
	v_addc_co_u32_e32 v1, vcc, v1, v18, vcc
	v_add_co_u32_e32 v6, vcc, s24, v6
	v_addc_co_u32_e32 v5, vcc, v5, v18, vcc
	;; [unrolled: 2-line block ×8, first 2 shown]
	s_and_b64 vcc, exec, s[0:1]
	s_cbranch_vccnz .LBB41_25
.LBB41_9:                               ; =>This Inner Loop Header: Depth=1
	v_mov_b32_e32 v19, s19
	v_add_co_u32_e32 v18, vcc, s18, v0
	v_addc_co_u32_e32 v19, vcc, 0, v19, vcc
	v_cmp_gt_u64_e32 vcc, s[16:17], v[18:19]
	v_pk_mov_b32 v[18:19], 0, 0
	v_pk_mov_b32 v[20:21], v[18:19], v[18:19] op_sel:[0,1]
	s_and_saveexec_b64 s[2:3], vcc
	s_cbranch_execz .LBB41_11
; %bb.10:                               ;   in Loop: Header=BB41_9 Depth=1
	v_mov_b32_e32 v21, s13
	v_add_co_u32_e64 v20, s[0:1], s12, v4
	v_addc_co_u32_e64 v21, s[0:1], v1, v21, s[0:1]
	global_load_dwordx2 v[20:21], v[20:21], off
.LBB41_11:                              ;   in Loop: Header=BB41_9 Depth=1
	s_or_b64 exec, exec, s[2:3]
	v_mov_b32_e32 v23, s19
	v_add_co_u32_e64 v22, s[0:1], s18, v32
	v_addc_co_u32_e64 v23, s[0:1], v33, v23, s[0:1]
	v_cmp_gt_u64_e64 s[0:1], s[16:17], v[22:23]
	s_and_saveexec_b64 s[4:5], s[0:1]
	s_cbranch_execz .LBB41_13
; %bb.12:                               ;   in Loop: Header=BB41_9 Depth=1
	v_mov_b32_e32 v19, s13
	v_add_co_u32_e64 v18, s[2:3], s12, v14
	v_addc_co_u32_e64 v19, s[2:3], v15, v19, s[2:3]
	global_load_dwordx2 v[18:19], v[18:19], off
.LBB41_13:                              ;   in Loop: Header=BB41_9 Depth=1
	s_or_b64 exec, exec, s[4:5]
	v_mov_b32_e32 v23, s19
	v_add_co_u32_e64 v22, s[2:3], s18, v30
	v_addc_co_u32_e64 v23, s[2:3], v31, v23, s[2:3]
	v_cmp_gt_u64_e64 s[2:3], s[16:17], v[22:23]
	v_pk_mov_b32 v[22:23], 0, 0
	v_pk_mov_b32 v[24:25], v[22:23], v[22:23] op_sel:[0,1]
	s_and_saveexec_b64 s[6:7], s[2:3]
	s_cbranch_execz .LBB41_15
; %bb.14:                               ;   in Loop: Header=BB41_9 Depth=1
	v_mov_b32_e32 v25, s13
	v_add_co_u32_e64 v24, s[4:5], s12, v2
	v_addc_co_u32_e64 v25, s[4:5], v11, v25, s[4:5]
	global_load_dwordx2 v[24:25], v[24:25], off
.LBB41_15:                              ;   in Loop: Header=BB41_9 Depth=1
	s_or_b64 exec, exec, s[6:7]
	v_mov_b32_e32 v27, s19
	v_add_co_u32_e64 v26, s[4:5], s18, v28
	v_addc_co_u32_e64 v27, s[4:5], v29, v27, s[4:5]
	v_cmp_gt_u64_e64 s[4:5], s[16:17], v[26:27]
	s_and_saveexec_b64 s[20:21], s[4:5]
	s_cbranch_execz .LBB41_17
; %bb.16:                               ;   in Loop: Header=BB41_9 Depth=1
	v_mov_b32_e32 v23, s13
	v_add_co_u32_e64 v22, s[6:7], s12, v8
	v_addc_co_u32_e64 v23, s[6:7], v7, v23, s[6:7]
	global_load_dwordx2 v[22:23], v[22:23], off
.LBB41_17:                              ;   in Loop: Header=BB41_9 Depth=1
	s_or_b64 exec, exec, s[20:21]
	global_load_dwordx2 v[26:27], v3, s[8:9]
	s_waitcnt vmcnt(0)
	v_mul_f64 v[26:27], v[26:27], s[10:11]
	s_and_saveexec_b64 s[6:7], vcc
	s_cbranch_execnz .LBB41_21
; %bb.18:                               ;   in Loop: Header=BB41_9 Depth=1
	s_or_b64 exec, exec, s[6:7]
	s_and_saveexec_b64 s[6:7], s[0:1]
	s_cbranch_execnz .LBB41_22
.LBB41_19:                              ;   in Loop: Header=BB41_9 Depth=1
	s_or_b64 exec, exec, s[6:7]
	s_and_saveexec_b64 s[0:1], s[2:3]
	s_cbranch_execnz .LBB41_23
.LBB41_20:                              ;   in Loop: Header=BB41_9 Depth=1
	s_or_b64 exec, exec, s[0:1]
	s_and_saveexec_b64 s[0:1], s[4:5]
	s_cbranch_execz .LBB41_8
	s_branch .LBB41_24
.LBB41_21:                              ;   in Loop: Header=BB41_9 Depth=1
	v_mov_b32_e32 v35, s13
	v_add_co_u32_e32 v34, vcc, s12, v6
	v_addc_co_u32_e32 v35, vcc, v5, v35, vcc
	v_mul_f64 v[20:21], v[20:21], v[26:27]
	global_store_dwordx2 v[34:35], v[20:21], off
	s_or_b64 exec, exec, s[6:7]
	s_and_saveexec_b64 s[6:7], s[0:1]
	s_cbranch_execz .LBB41_19
.LBB41_22:                              ;   in Loop: Header=BB41_9 Depth=1
	v_mov_b32_e32 v21, s13
	v_add_co_u32_e32 v20, vcc, s12, v16
	v_mul_f64 v[18:19], v[18:19], v[26:27]
	v_addc_co_u32_e32 v21, vcc, v17, v21, vcc
	global_store_dwordx2 v[20:21], v[18:19], off
	s_or_b64 exec, exec, s[6:7]
	s_and_saveexec_b64 s[0:1], s[2:3]
	s_cbranch_execz .LBB41_20
.LBB41_23:                              ;   in Loop: Header=BB41_9 Depth=1
	v_mov_b32_e32 v21, s13
	v_add_co_u32_e32 v20, vcc, s12, v12
	v_mul_f64 v[18:19], v[24:25], v[26:27]
	v_addc_co_u32_e32 v21, vcc, v13, v21, vcc
	global_store_dwordx2 v[20:21], v[18:19], off
	s_or_b64 exec, exec, s[0:1]
	s_and_saveexec_b64 s[0:1], s[4:5]
	s_cbranch_execz .LBB41_8
.LBB41_24:                              ;   in Loop: Header=BB41_9 Depth=1
	v_mov_b32_e32 v21, s13
	v_add_co_u32_e32 v20, vcc, s12, v10
	v_mul_f64 v[18:19], v[22:23], v[26:27]
	v_addc_co_u32_e32 v21, vcc, v9, v21, vcc
	global_store_dwordx2 v[20:21], v[18:19], off
	s_branch .LBB41_8
.LBB41_25:
	s_endpgm
	.section	.rodata,"a",@progbits
	.p2align	6, 0x0
	.amdhsa_kernel _ZN2at6native12_GLOBAL__N_125multi_tensor_apply_kernelINS1_18TensorListMetadataILi2EEENS1_27BinaryOpScalarTensorFunctorIdLi2ELi1ELi1EEEJSt10multipliesIdEPddEEEvT_T0_DpT1_
		.amdhsa_group_segment_fixed_size 0
		.amdhsa_private_segment_fixed_size 0
		.amdhsa_kernarg_size 3424
		.amdhsa_user_sgpr_count 6
		.amdhsa_user_sgpr_private_segment_buffer 1
		.amdhsa_user_sgpr_dispatch_ptr 0
		.amdhsa_user_sgpr_queue_ptr 0
		.amdhsa_user_sgpr_kernarg_segment_ptr 1
		.amdhsa_user_sgpr_dispatch_id 0
		.amdhsa_user_sgpr_flat_scratch_init 0
		.amdhsa_user_sgpr_kernarg_preload_length 0
		.amdhsa_user_sgpr_kernarg_preload_offset 0
		.amdhsa_user_sgpr_private_segment_size 0
		.amdhsa_uses_dynamic_stack 0
		.amdhsa_system_sgpr_private_segment_wavefront_offset 0
		.amdhsa_system_sgpr_workgroup_id_x 1
		.amdhsa_system_sgpr_workgroup_id_y 0
		.amdhsa_system_sgpr_workgroup_id_z 0
		.amdhsa_system_sgpr_workgroup_info 0
		.amdhsa_system_vgpr_workitem_id 0
		.amdhsa_next_free_vgpr 36
		.amdhsa_next_free_sgpr 30
		.amdhsa_accum_offset 36
		.amdhsa_reserve_vcc 1
		.amdhsa_reserve_flat_scratch 0
		.amdhsa_float_round_mode_32 0
		.amdhsa_float_round_mode_16_64 0
		.amdhsa_float_denorm_mode_32 3
		.amdhsa_float_denorm_mode_16_64 3
		.amdhsa_dx10_clamp 1
		.amdhsa_ieee_mode 1
		.amdhsa_fp16_overflow 0
		.amdhsa_tg_split 0
		.amdhsa_exception_fp_ieee_invalid_op 0
		.amdhsa_exception_fp_denorm_src 0
		.amdhsa_exception_fp_ieee_div_zero 0
		.amdhsa_exception_fp_ieee_overflow 0
		.amdhsa_exception_fp_ieee_underflow 0
		.amdhsa_exception_fp_ieee_inexact 0
		.amdhsa_exception_int_div_zero 0
	.end_amdhsa_kernel
	.section	.text._ZN2at6native12_GLOBAL__N_125multi_tensor_apply_kernelINS1_18TensorListMetadataILi2EEENS1_27BinaryOpScalarTensorFunctorIdLi2ELi1ELi1EEEJSt10multipliesIdEPddEEEvT_T0_DpT1_,"axG",@progbits,_ZN2at6native12_GLOBAL__N_125multi_tensor_apply_kernelINS1_18TensorListMetadataILi2EEENS1_27BinaryOpScalarTensorFunctorIdLi2ELi1ELi1EEEJSt10multipliesIdEPddEEEvT_T0_DpT1_,comdat
.Lfunc_end41:
	.size	_ZN2at6native12_GLOBAL__N_125multi_tensor_apply_kernelINS1_18TensorListMetadataILi2EEENS1_27BinaryOpScalarTensorFunctorIdLi2ELi1ELi1EEEJSt10multipliesIdEPddEEEvT_T0_DpT1_, .Lfunc_end41-_ZN2at6native12_GLOBAL__N_125multi_tensor_apply_kernelINS1_18TensorListMetadataILi2EEENS1_27BinaryOpScalarTensorFunctorIdLi2ELi1ELi1EEEJSt10multipliesIdEPddEEEvT_T0_DpT1_
                                        ; -- End function
	.section	.AMDGPU.csdata,"",@progbits
; Kernel info:
; codeLenInByte = 1340
; NumSgprs: 34
; NumVgprs: 36
; NumAgprs: 0
; TotalNumVgprs: 36
; ScratchSize: 0
; MemoryBound: 0
; FloatMode: 240
; IeeeMode: 1
; LDSByteSize: 0 bytes/workgroup (compile time only)
; SGPRBlocks: 4
; VGPRBlocks: 4
; NumSGPRsForWavesPerEU: 34
; NumVGPRsForWavesPerEU: 36
; AccumOffset: 36
; Occupancy: 8
; WaveLimiterHint : 0
; COMPUTE_PGM_RSRC2:SCRATCH_EN: 0
; COMPUTE_PGM_RSRC2:USER_SGPR: 6
; COMPUTE_PGM_RSRC2:TRAP_HANDLER: 0
; COMPUTE_PGM_RSRC2:TGID_X_EN: 1
; COMPUTE_PGM_RSRC2:TGID_Y_EN: 0
; COMPUTE_PGM_RSRC2:TGID_Z_EN: 0
; COMPUTE_PGM_RSRC2:TIDIG_COMP_CNT: 0
; COMPUTE_PGM_RSRC3_GFX90A:ACCUM_OFFSET: 8
; COMPUTE_PGM_RSRC3_GFX90A:TG_SPLIT: 0
	.section	.text._ZN2at6native12_GLOBAL__N_125multi_tensor_apply_kernelINS1_18TensorListMetadataILi2EEENS1_27BinaryOpScalarTensorFunctorIfLi2ELi1ELi1EEEJSt10multipliesIfEPffEEEvT_T0_DpT1_,"axG",@progbits,_ZN2at6native12_GLOBAL__N_125multi_tensor_apply_kernelINS1_18TensorListMetadataILi2EEENS1_27BinaryOpScalarTensorFunctorIfLi2ELi1ELi1EEEJSt10multipliesIfEPffEEEvT_T0_DpT1_,comdat
	.globl	_ZN2at6native12_GLOBAL__N_125multi_tensor_apply_kernelINS1_18TensorListMetadataILi2EEENS1_27BinaryOpScalarTensorFunctorIfLi2ELi1ELi1EEEJSt10multipliesIfEPffEEEvT_T0_DpT1_ ; -- Begin function _ZN2at6native12_GLOBAL__N_125multi_tensor_apply_kernelINS1_18TensorListMetadataILi2EEENS1_27BinaryOpScalarTensorFunctorIfLi2ELi1ELi1EEEJSt10multipliesIfEPffEEEvT_T0_DpT1_
	.p2align	8
	.type	_ZN2at6native12_GLOBAL__N_125multi_tensor_apply_kernelINS1_18TensorListMetadataILi2EEENS1_27BinaryOpScalarTensorFunctorIfLi2ELi1ELi1EEEJSt10multipliesIfEPffEEEvT_T0_DpT1_,@function
_ZN2at6native12_GLOBAL__N_125multi_tensor_apply_kernelINS1_18TensorListMetadataILi2EEENS1_27BinaryOpScalarTensorFunctorIfLi2ELi1ELi1EEEJSt10multipliesIfEPffEEEvT_T0_DpT1_: ; @_ZN2at6native12_GLOBAL__N_125multi_tensor_apply_kernelINS1_18TensorListMetadataILi2EEENS1_27BinaryOpScalarTensorFunctorIfLi2ELi1ELi1EEEJSt10multipliesIfEPffEEEvT_T0_DpT1_
; %bb.0:
	v_mov_b32_e32 v1, s6
	global_load_ubyte v1, v1, s[4:5] offset:1536
	s_load_dword s22, s[4:5], 0xc58
	s_add_u32 s0, s4, s6
	s_mul_hi_u32 s2, s6, 3
	s_mul_i32 s6, s6, 3
	s_addc_u32 s7, s5, 0
	s_add_u32 s6, s0, s6
	s_addc_u32 s7, s7, s2
	s_load_dword s12, s[6:7], 0x740
	s_mov_b32 s1, 0
	s_mov_b32 s19, s1
	;; [unrolled: 1-line block ×3, first 2 shown]
	s_waitcnt lgkmcnt(0)
	s_ashr_i32 s13, s12, 31
	s_lshl_b64 s[10:11], s[12:13], 18
	s_lshl_b64 s[12:13], s[12:13], 16
	s_waitcnt vmcnt(0)
	v_readfirstlane_b32 s0, v1
	s_lshl_b32 s0, s0, 3
	s_load_dwordx2 s[16:17], s[4:5], s0 offset:0x0
	s_load_dwordx2 s[8:9], s[4:5], 0xc50
	s_load_dwordx2 s[14:15], s[4:5], s0 offset:0x400
	s_load_dwordx2 s[6:7], s[4:5], s0 offset:0x200
	s_waitcnt lgkmcnt(0)
	s_and_b32 s0, s16, 15
	s_and_b32 s18, s14, 3
	s_and_b32 s2, s6, 15
	s_or_b64 s[18:19], s[0:1], s[18:19]
	s_or_b64 s[2:3], s[2:3], s[18:19]
	s_sub_u32 s12, s14, s12
	s_subb_u32 s13, s15, s13
	s_cmp_eq_u64 s[2:3], 0
	s_mov_b64 s[2:3], -1
	s_cbranch_scc0 .LBB42_5
; %bb.1:
	v_mov_b32_e32 v3, 0
	v_lshlrev_b32_e32 v2, 2, v0
	v_cmp_gt_i64_e32 vcc, s[12:13], v[2:3]
	s_and_saveexec_b64 s[14:15], vcc
	s_cbranch_execz .LBB42_4
; %bb.2:
	s_load_dword s0, s[4:5], 0xc6c
	v_lshlrev_b32_e32 v1, 4, v0
	v_mov_b32_e32 v4, s11
	v_add_co_u32_e32 v1, vcc, s10, v1
	s_waitcnt lgkmcnt(0)
	s_and_b32 s0, s0, 0xffff
	v_addc_co_u32_e32 v5, vcc, 0, v4, vcc
	v_add_lshl_u32 v2, v0, s0, 2
	v_add_co_u32_e32 v4, vcc, 8, v1
	s_lshl_b32 s23, s0, 2
	v_addc_co_u32_e32 v1, vcc, 0, v5, vcc
	s_lshl_b32 s24, s0, 4
	s_mov_b64 s[18:19], 0
	v_mov_b32_e32 v5, s17
	v_mov_b32_e32 v8, s7
	s_mov_b64 s[20:21], 0xffff
	v_mov_b32_e32 v9, s1
	v_mov_b32_e32 v10, s1
	v_pk_mov_b32 v[6:7], v[2:3], v[2:3] op_sel:[0,1]
.LBB42_3:                               ; =>This Inner Loop Header: Depth=1
	v_add_co_u32_e32 v16, vcc, s16, v4
	v_addc_co_u32_e32 v17, vcc, v5, v1, vcc
	global_load_dword v2, v3, s[8:9]
	global_load_dwordx4 v[12:15], v[16:17], off offset:-8
	v_add_co_u32_e32 v16, vcc, s6, v4
	v_addc_co_u32_e32 v17, vcc, v8, v1, vcc
	v_cmp_le_i64_e32 vcc, s[12:13], v[6:7]
	v_cmp_lt_u64_e64 s[0:1], s[20:21], v[6:7]
	v_add_co_u32_e64 v6, s[2:3], s23, v6
	v_addc_co_u32_e64 v7, s[2:3], v7, v9, s[2:3]
	s_or_b64 s[0:1], vcc, s[0:1]
	v_add_co_u32_e64 v4, s[2:3], s24, v4
	s_and_b64 s[0:1], exec, s[0:1]
	v_addc_co_u32_e64 v1, s[2:3], v1, v10, s[2:3]
	s_or_b64 s[18:19], s[0:1], s[18:19]
	s_waitcnt vmcnt(1)
	v_mul_f32_e32 v2, s22, v2
	s_waitcnt vmcnt(0)
	v_pk_mul_f32 v[12:13], v[12:13], v[2:3] op_sel_hi:[1,0]
	v_pk_mul_f32 v[14:15], v[14:15], v[2:3] op_sel_hi:[1,0]
	global_store_dwordx4 v[16:17], v[12:15], off offset:-8
	s_andn2_b64 exec, exec, s[18:19]
	s_cbranch_execnz .LBB42_3
.LBB42_4:
	s_or_b64 exec, exec, s[14:15]
	s_mov_b64 s[2:3], 0
.LBB42_5:
	s_andn2_b64 vcc, exec, s[2:3]
	s_cbranch_vccnz .LBB42_25
; %bb.6:
	v_cmp_lt_i64_e64 s[0:1], s[12:13], 1
	s_and_b64 vcc, exec, s[0:1]
	s_cbranch_vccnz .LBB42_25
; %bb.7:
	s_load_dword s0, s[4:5], 0xc6c
	v_mov_b32_e32 v4, 0x10000
	v_mov_b32_e32 v5, 0
	v_cmp_lt_u64_e32 vcc, s[12:13], v[4:5]
	v_lshlrev_b32_e32 v2, 2, v0
	s_waitcnt lgkmcnt(0)
	s_and_b32 s2, s0, 0xffff
	s_and_b64 s[0:1], vcc, exec
	v_mov_b32_e32 v15, s17
	v_add_co_u32_e32 v4, vcc, s16, v2
	v_addc_co_u32_e32 v1, vcc, 0, v15, vcc
	v_mov_b32_e32 v3, 0
	v_mov_b32_e32 v17, s7
	v_add_co_u32_e32 v6, vcc, s6, v2
	v_addc_co_u32_e32 v5, vcc, 0, v17, vcc
	v_mad_u64_u32 v[10:11], s[0:1], s2, 12, v[2:3]
	v_add_co_u32_e32 v8, vcc, s16, v10
	v_addc_co_u32_e32 v7, vcc, v15, v11, vcc
	v_add_co_u32_e32 v10, vcc, s6, v10
	s_mul_i32 s4, s2, 3
	v_addc_co_u32_e32 v9, vcc, v17, v11, vcc
	v_add_co_u32_e32 v18, vcc, s4, v0
	v_addc_co_u32_e64 v19, s[0:1], 0, 0, vcc
	s_cselect_b32 s15, s13, 0
	s_cselect_b32 s14, s12, 0x10000
	s_lshl_b32 s0, s2, 3
	v_add_co_u32_e32 v12, vcc, s0, v2
	v_addc_co_u32_e64 v13, s[0:1], 0, 0, vcc
	v_add_co_u32_e32 v2, vcc, s16, v12
	v_addc_co_u32_e32 v11, vcc, v15, v13, vcc
	v_add_co_u32_e32 v12, vcc, s6, v12
	s_lshl_b32 s3, s2, 1
	v_addc_co_u32_e32 v13, vcc, v17, v13, vcc
	v_add_co_u32_e32 v20, vcc, s3, v0
	v_addc_co_u32_e64 v21, s[0:1], 0, 0, vcc
	v_add_co_u32_e32 v22, vcc, s2, v0
	v_lshlrev_b32_e32 v16, 2, v22
	v_addc_co_u32_e64 v23, s[0:1], 0, 0, vcc
	v_add_co_u32_e32 v14, vcc, s16, v16
	v_addc_co_u32_e32 v15, vcc, 0, v15, vcc
	v_add_co_u32_e32 v16, vcc, s6, v16
	s_mov_b32 s20, 0
	s_lshl_b32 s21, s2, 2
	s_lshl_b32 s23, s2, 4
	v_addc_co_u32_e32 v17, vcc, 0, v17, vcc
	s_mov_b64 s[16:17], 0
	s_branch .LBB42_9
.LBB42_8:                               ;   in Loop: Header=BB42_9 Depth=1
	s_or_b64 exec, exec, s[0:1]
	s_add_u32 s16, s16, s21
	s_addc_u32 s17, s17, 0
	v_pk_mov_b32 v[24:25], s[12:13], s[12:13] op_sel:[0,1]
	v_cmp_ge_i64_e32 vcc, s[16:17], v[24:25]
	v_mov_b32_e32 v24, 0xffff
	v_mov_b32_e32 v25, 0
	v_cmp_gt_u64_e64 s[0:1], s[16:17], v[24:25]
	s_or_b64 s[0:1], vcc, s[0:1]
	v_mov_b32_e32 v24, s20
	v_add_co_u32_e32 v4, vcc, s23, v4
	v_addc_co_u32_e32 v1, vcc, v1, v24, vcc
	v_add_co_u32_e32 v6, vcc, s23, v6
	v_addc_co_u32_e32 v5, vcc, v5, v24, vcc
	;; [unrolled: 2-line block ×8, first 2 shown]
	s_and_b64 vcc, exec, s[0:1]
	s_cbranch_vccnz .LBB42_25
.LBB42_9:                               ; =>This Inner Loop Header: Depth=1
	v_mov_b32_e32 v25, s17
	v_add_co_u32_e32 v24, vcc, s16, v0
	v_addc_co_u32_e32 v25, vcc, 0, v25, vcc
	v_cmp_gt_u64_e32 vcc, s[14:15], v[24:25]
	v_mov_b32_e32 v25, 0
	s_and_saveexec_b64 s[2:3], vcc
	s_cbranch_execz .LBB42_11
; %bb.10:                               ;   in Loop: Header=BB42_9 Depth=1
	v_mov_b32_e32 v25, s11
	v_add_co_u32_e64 v24, s[0:1], s10, v4
	v_addc_co_u32_e64 v25, s[0:1], v1, v25, s[0:1]
	global_load_dword v25, v[24:25], off
.LBB42_11:                              ;   in Loop: Header=BB42_9 Depth=1
	s_or_b64 exec, exec, s[2:3]
	v_mov_b32_e32 v24, s17
	v_add_co_u32_e64 v26, s[0:1], s16, v22
	v_addc_co_u32_e64 v27, s[0:1], v23, v24, s[0:1]
	v_cmp_gt_u64_e64 s[0:1], s[14:15], v[26:27]
	v_mov_b32_e32 v24, 0
	v_mov_b32_e32 v26, 0
	s_and_saveexec_b64 s[4:5], s[0:1]
	s_cbranch_execz .LBB42_13
; %bb.12:                               ;   in Loop: Header=BB42_9 Depth=1
	v_mov_b32_e32 v27, s11
	v_add_co_u32_e64 v26, s[2:3], s10, v14
	v_addc_co_u32_e64 v27, s[2:3], v15, v27, s[2:3]
	global_load_dword v26, v[26:27], off
.LBB42_13:                              ;   in Loop: Header=BB42_9 Depth=1
	s_or_b64 exec, exec, s[4:5]
	v_mov_b32_e32 v27, s17
	v_add_co_u32_e64 v28, s[2:3], s16, v20
	v_addc_co_u32_e64 v29, s[2:3], v21, v27, s[2:3]
	v_cmp_gt_u64_e64 s[2:3], s[14:15], v[28:29]
	s_and_saveexec_b64 s[6:7], s[2:3]
	s_cbranch_execz .LBB42_15
; %bb.14:                               ;   in Loop: Header=BB42_9 Depth=1
	v_mov_b32_e32 v24, s11
	v_add_co_u32_e64 v28, s[4:5], s10, v2
	v_addc_co_u32_e64 v29, s[4:5], v11, v24, s[4:5]
	global_load_dword v24, v[28:29], off
.LBB42_15:                              ;   in Loop: Header=BB42_9 Depth=1
	s_or_b64 exec, exec, s[6:7]
	v_mov_b32_e32 v27, s17
	v_add_co_u32_e64 v28, s[4:5], s16, v18
	v_addc_co_u32_e64 v29, s[4:5], v19, v27, s[4:5]
	v_cmp_gt_u64_e64 s[4:5], s[14:15], v[28:29]
	v_mov_b32_e32 v27, 0
	s_and_saveexec_b64 s[18:19], s[4:5]
	s_cbranch_execz .LBB42_17
; %bb.16:                               ;   in Loop: Header=BB42_9 Depth=1
	v_mov_b32_e32 v27, s11
	v_add_co_u32_e64 v28, s[6:7], s10, v8
	v_addc_co_u32_e64 v29, s[6:7], v7, v27, s[6:7]
	global_load_dword v27, v[28:29], off
.LBB42_17:                              ;   in Loop: Header=BB42_9 Depth=1
	s_or_b64 exec, exec, s[18:19]
	global_load_dword v28, v3, s[8:9]
	s_waitcnt vmcnt(0)
	v_mul_f32_e32 v28, s22, v28
	s_and_saveexec_b64 s[6:7], vcc
	s_cbranch_execnz .LBB42_21
; %bb.18:                               ;   in Loop: Header=BB42_9 Depth=1
	s_or_b64 exec, exec, s[6:7]
	s_and_saveexec_b64 s[6:7], s[0:1]
	s_cbranch_execnz .LBB42_22
.LBB42_19:                              ;   in Loop: Header=BB42_9 Depth=1
	s_or_b64 exec, exec, s[6:7]
	s_and_saveexec_b64 s[0:1], s[2:3]
	s_cbranch_execnz .LBB42_23
.LBB42_20:                              ;   in Loop: Header=BB42_9 Depth=1
	s_or_b64 exec, exec, s[0:1]
	s_and_saveexec_b64 s[0:1], s[4:5]
	s_cbranch_execz .LBB42_8
	s_branch .LBB42_24
.LBB42_21:                              ;   in Loop: Header=BB42_9 Depth=1
	v_mov_b32_e32 v29, s11
	v_add_co_u32_e32 v30, vcc, s10, v6
	v_addc_co_u32_e32 v31, vcc, v5, v29, vcc
	v_mul_f32_e32 v25, v25, v28
	global_store_dword v[30:31], v25, off
	s_or_b64 exec, exec, s[6:7]
	s_and_saveexec_b64 s[6:7], s[0:1]
	s_cbranch_execz .LBB42_19
.LBB42_22:                              ;   in Loop: Header=BB42_9 Depth=1
	v_mul_f32_e32 v25, v26, v28
	v_mov_b32_e32 v26, s11
	v_add_co_u32_e32 v30, vcc, s10, v16
	v_addc_co_u32_e32 v31, vcc, v17, v26, vcc
	global_store_dword v[30:31], v25, off
	s_or_b64 exec, exec, s[6:7]
	s_and_saveexec_b64 s[0:1], s[2:3]
	s_cbranch_execz .LBB42_20
.LBB42_23:                              ;   in Loop: Header=BB42_9 Depth=1
	v_mul_f32_e32 v26, v24, v28
	v_mov_b32_e32 v25, s11
	v_add_co_u32_e32 v24, vcc, s10, v12
	v_addc_co_u32_e32 v25, vcc, v13, v25, vcc
	global_store_dword v[24:25], v26, off
	s_or_b64 exec, exec, s[0:1]
	s_and_saveexec_b64 s[0:1], s[4:5]
	s_cbranch_execz .LBB42_8
.LBB42_24:                              ;   in Loop: Header=BB42_9 Depth=1
	v_mov_b32_e32 v25, s11
	v_add_co_u32_e32 v24, vcc, s10, v10
	v_mul_f32_e32 v26, v27, v28
	v_addc_co_u32_e32 v25, vcc, v9, v25, vcc
	global_store_dword v[24:25], v26, off
	s_branch .LBB42_8
.LBB42_25:
	s_endpgm
	.section	.rodata,"a",@progbits
	.p2align	6, 0x0
	.amdhsa_kernel _ZN2at6native12_GLOBAL__N_125multi_tensor_apply_kernelINS1_18TensorListMetadataILi2EEENS1_27BinaryOpScalarTensorFunctorIfLi2ELi1ELi1EEEJSt10multipliesIfEPffEEEvT_T0_DpT1_
		.amdhsa_group_segment_fixed_size 0
		.amdhsa_private_segment_fixed_size 0
		.amdhsa_kernarg_size 3424
		.amdhsa_user_sgpr_count 6
		.amdhsa_user_sgpr_private_segment_buffer 1
		.amdhsa_user_sgpr_dispatch_ptr 0
		.amdhsa_user_sgpr_queue_ptr 0
		.amdhsa_user_sgpr_kernarg_segment_ptr 1
		.amdhsa_user_sgpr_dispatch_id 0
		.amdhsa_user_sgpr_flat_scratch_init 0
		.amdhsa_user_sgpr_kernarg_preload_length 0
		.amdhsa_user_sgpr_kernarg_preload_offset 0
		.amdhsa_user_sgpr_private_segment_size 0
		.amdhsa_uses_dynamic_stack 0
		.amdhsa_system_sgpr_private_segment_wavefront_offset 0
		.amdhsa_system_sgpr_workgroup_id_x 1
		.amdhsa_system_sgpr_workgroup_id_y 0
		.amdhsa_system_sgpr_workgroup_id_z 0
		.amdhsa_system_sgpr_workgroup_info 0
		.amdhsa_system_vgpr_workitem_id 0
		.amdhsa_next_free_vgpr 32
		.amdhsa_next_free_sgpr 25
		.amdhsa_accum_offset 32
		.amdhsa_reserve_vcc 1
		.amdhsa_reserve_flat_scratch 0
		.amdhsa_float_round_mode_32 0
		.amdhsa_float_round_mode_16_64 0
		.amdhsa_float_denorm_mode_32 3
		.amdhsa_float_denorm_mode_16_64 3
		.amdhsa_dx10_clamp 1
		.amdhsa_ieee_mode 1
		.amdhsa_fp16_overflow 0
		.amdhsa_tg_split 0
		.amdhsa_exception_fp_ieee_invalid_op 0
		.amdhsa_exception_fp_denorm_src 0
		.amdhsa_exception_fp_ieee_div_zero 0
		.amdhsa_exception_fp_ieee_overflow 0
		.amdhsa_exception_fp_ieee_underflow 0
		.amdhsa_exception_fp_ieee_inexact 0
		.amdhsa_exception_int_div_zero 0
	.end_amdhsa_kernel
	.section	.text._ZN2at6native12_GLOBAL__N_125multi_tensor_apply_kernelINS1_18TensorListMetadataILi2EEENS1_27BinaryOpScalarTensorFunctorIfLi2ELi1ELi1EEEJSt10multipliesIfEPffEEEvT_T0_DpT1_,"axG",@progbits,_ZN2at6native12_GLOBAL__N_125multi_tensor_apply_kernelINS1_18TensorListMetadataILi2EEENS1_27BinaryOpScalarTensorFunctorIfLi2ELi1ELi1EEEJSt10multipliesIfEPffEEEvT_T0_DpT1_,comdat
.Lfunc_end42:
	.size	_ZN2at6native12_GLOBAL__N_125multi_tensor_apply_kernelINS1_18TensorListMetadataILi2EEENS1_27BinaryOpScalarTensorFunctorIfLi2ELi1ELi1EEEJSt10multipliesIfEPffEEEvT_T0_DpT1_, .Lfunc_end42-_ZN2at6native12_GLOBAL__N_125multi_tensor_apply_kernelINS1_18TensorListMetadataILi2EEENS1_27BinaryOpScalarTensorFunctorIfLi2ELi1ELi1EEEJSt10multipliesIfEPffEEEvT_T0_DpT1_
                                        ; -- End function
	.section	.AMDGPU.csdata,"",@progbits
; Kernel info:
; codeLenInByte = 1276
; NumSgprs: 29
; NumVgprs: 32
; NumAgprs: 0
; TotalNumVgprs: 32
; ScratchSize: 0
; MemoryBound: 0
; FloatMode: 240
; IeeeMode: 1
; LDSByteSize: 0 bytes/workgroup (compile time only)
; SGPRBlocks: 3
; VGPRBlocks: 3
; NumSGPRsForWavesPerEU: 29
; NumVGPRsForWavesPerEU: 32
; AccumOffset: 32
; Occupancy: 8
; WaveLimiterHint : 0
; COMPUTE_PGM_RSRC2:SCRATCH_EN: 0
; COMPUTE_PGM_RSRC2:USER_SGPR: 6
; COMPUTE_PGM_RSRC2:TRAP_HANDLER: 0
; COMPUTE_PGM_RSRC2:TGID_X_EN: 1
; COMPUTE_PGM_RSRC2:TGID_Y_EN: 0
; COMPUTE_PGM_RSRC2:TGID_Z_EN: 0
; COMPUTE_PGM_RSRC2:TIDIG_COMP_CNT: 0
; COMPUTE_PGM_RSRC3_GFX90A:ACCUM_OFFSET: 7
; COMPUTE_PGM_RSRC3_GFX90A:TG_SPLIT: 0
	.section	.text._ZN2at6native12_GLOBAL__N_125multi_tensor_apply_kernelINS1_18TensorListMetadataILi2EEENS1_27BinaryOpScalarTensorFunctorIN3c107complexIdEELi2ELi1ELi1EEEJSt10multipliesIS8_EPS8_S8_EEEvT_T0_DpT1_,"axG",@progbits,_ZN2at6native12_GLOBAL__N_125multi_tensor_apply_kernelINS1_18TensorListMetadataILi2EEENS1_27BinaryOpScalarTensorFunctorIN3c107complexIdEELi2ELi1ELi1EEEJSt10multipliesIS8_EPS8_S8_EEEvT_T0_DpT1_,comdat
	.globl	_ZN2at6native12_GLOBAL__N_125multi_tensor_apply_kernelINS1_18TensorListMetadataILi2EEENS1_27BinaryOpScalarTensorFunctorIN3c107complexIdEELi2ELi1ELi1EEEJSt10multipliesIS8_EPS8_S8_EEEvT_T0_DpT1_ ; -- Begin function _ZN2at6native12_GLOBAL__N_125multi_tensor_apply_kernelINS1_18TensorListMetadataILi2EEENS1_27BinaryOpScalarTensorFunctorIN3c107complexIdEELi2ELi1ELi1EEEJSt10multipliesIS8_EPS8_S8_EEEvT_T0_DpT1_
	.p2align	8
	.type	_ZN2at6native12_GLOBAL__N_125multi_tensor_apply_kernelINS1_18TensorListMetadataILi2EEENS1_27BinaryOpScalarTensorFunctorIN3c107complexIdEELi2ELi1ELi1EEEJSt10multipliesIS8_EPS8_S8_EEEvT_T0_DpT1_,@function
_ZN2at6native12_GLOBAL__N_125multi_tensor_apply_kernelINS1_18TensorListMetadataILi2EEENS1_27BinaryOpScalarTensorFunctorIN3c107complexIdEELi2ELi1ELi1EEEJSt10multipliesIS8_EPS8_S8_EEEvT_T0_DpT1_: ; @_ZN2at6native12_GLOBAL__N_125multi_tensor_apply_kernelINS1_18TensorListMetadataILi2EEENS1_27BinaryOpScalarTensorFunctorIN3c107complexIdEELi2ELi1ELi1EEEJSt10multipliesIS8_EPS8_S8_EEEvT_T0_DpT1_
; %bb.0:
	v_mov_b32_e32 v1, s6
	global_load_ubyte v1, v1, s[4:5] offset:1536
	s_load_dwordx4 s[8:11], s[4:5], 0xc60
	s_add_u32 s0, s4, s6
	s_mul_hi_u32 s2, s6, 3
	s_mul_i32 s6, s6, 3
	s_addc_u32 s7, s5, 0
	s_add_u32 s6, s0, s6
	s_addc_u32 s7, s7, s2
	s_load_dword s16, s[6:7], 0x740
	s_mov_b32 s1, 0
	s_mov_b32 s3, s1
	;; [unrolled: 1-line block ×3, first 2 shown]
	s_waitcnt lgkmcnt(0)
	s_ashr_i32 s17, s16, 31
	s_lshl_b64 s[14:15], s[16:17], 20
	s_waitcnt vmcnt(0)
	v_readfirstlane_b32 s0, v1
	s_lshl_b32 s0, s0, 3
	s_load_dwordx2 s[22:23], s[4:5], s0 offset:0x0
	s_load_dwordx2 s[12:13], s[4:5], 0xc50
	s_load_dwordx2 s[18:19], s[4:5], s0 offset:0x400
	s_load_dwordx2 s[6:7], s[4:5], s0 offset:0x200
	s_waitcnt lgkmcnt(0)
	s_add_u32 s26, s22, s14
	s_addc_u32 s27, s23, s15
	s_add_u32 s28, s6, s14
	s_addc_u32 s29, s7, s15
	s_and_b32 s2, s26, 63
	s_and_b32 s20, s18, 3
	;; [unrolled: 1-line block ×3, first 2 shown]
	s_or_b64 s[2:3], s[2:3], s[20:21]
	s_lshl_b64 s[16:17], s[16:17], 16
	s_or_b64 s[2:3], s[0:1], s[2:3]
	s_sub_u32 s16, s18, s16
	s_subb_u32 s17, s19, s17
	s_cmp_eq_u64 s[2:3], 0
	s_mov_b64 s[2:3], -1
	s_cbranch_scc0 .LBB43_5
; %bb.1:
	v_mov_b32_e32 v3, 0
	v_lshlrev_b32_e32 v2, 2, v0
	v_cmp_gt_i64_e32 vcc, s[16:17], v[2:3]
	s_and_saveexec_b64 s[18:19], vcc
	s_cbranch_execz .LBB43_4
; %bb.2:
	s_load_dword s0, s[4:5], 0xc7c
	v_lshlrev_b32_e32 v4, 6, v0
	s_mov_b64 s[20:21], 0
	s_mov_b64 s[24:25], 0xffff
	v_mov_b32_e32 v1, s1
	s_waitcnt lgkmcnt(0)
	s_and_b32 s0, s0, 0xffff
	v_add_lshl_u32 v2, v0, s0, 2
	s_lshl_b32 s30, s0, 2
	s_lshl_b32 s31, s0, 6
	v_pk_mov_b32 v[6:7], v[2:3], v[2:3] op_sel:[0,1]
.LBB43_3:                               ; =>This Inner Loop Header: Depth=1
	global_load_dwordx4 v[8:11], v3, s[12:13]
	v_mov_b32_e32 v2, s27
	v_add_co_u32_e32 v28, vcc, s26, v4
	v_addc_co_u32_e32 v29, vcc, 0, v2, vcc
	global_load_dwordx4 v[12:15], v[28:29], off
	global_load_dwordx4 v[16:19], v[28:29], off offset:16
	global_load_dwordx4 v[20:23], v[28:29], off offset:32
	;; [unrolled: 1-line block ×3, first 2 shown]
	v_cmp_le_i64_e32 vcc, s[16:17], v[6:7]
	v_cmp_lt_u64_e64 s[0:1], s[24:25], v[6:7]
	s_or_b64 s[0:1], vcc, s[0:1]
	v_add_co_u32_e64 v6, s[2:3], s30, v6
	s_add_u32 s26, s26, s31
	v_addc_co_u32_e64 v7, s[2:3], v7, v1, s[2:3]
	s_addc_u32 s27, s27, 0
	v_add_co_u32_e64 v40, s[2:3], s28, v4
	s_add_u32 s28, s28, s31
	v_mov_b32_e32 v2, s29
	s_addc_u32 s29, s29, 0
	s_and_b64 s[0:1], exec, s[0:1]
	v_addc_co_u32_e64 v41, s[2:3], 0, v2, s[2:3]
	s_or_b64 s[20:21], s[0:1], s[20:21]
	s_waitcnt vmcnt(4)
	v_mul_f64 v[32:33], s[8:9], v[10:11]
	v_mul_f64 v[28:29], s[10:11], v[10:11]
	v_fmac_f64_e32 v[32:33], s[10:11], v[8:9]
	v_fma_f64 v[42:43], s[8:9], v[8:9], -v[28:29]
	s_waitcnt vmcnt(3)
	v_mul_f64 v[8:9], v[14:15], v[32:33]
	v_mul_f64 v[10:11], v[12:13], v[32:33]
	s_waitcnt vmcnt(2)
	v_mul_f64 v[28:29], v[18:19], v[32:33]
	v_mul_f64 v[30:31], v[16:17], v[32:33]
	s_waitcnt vmcnt(1)
	v_mul_f64 v[36:37], v[22:23], v[32:33]
	v_mul_f64 v[34:35], v[20:21], v[32:33]
	s_waitcnt vmcnt(0)
	v_mul_f64 v[44:45], v[26:27], v[32:33]
	v_mul_f64 v[38:39], v[24:25], v[32:33]
	v_fma_f64 v[8:9], v[12:13], v[42:43], -v[8:9]
	v_fmac_f64_e32 v[10:11], v[14:15], v[42:43]
	v_fma_f64 v[28:29], v[16:17], v[42:43], -v[28:29]
	v_fmac_f64_e32 v[30:31], v[18:19], v[42:43]
	;; [unrolled: 2-line block ×4, first 2 shown]
	global_store_dwordx4 v[40:41], v[8:11], off
	global_store_dwordx4 v[40:41], v[28:31], off offset:16
	global_store_dwordx4 v[40:41], v[32:35], off offset:32
	;; [unrolled: 1-line block ×3, first 2 shown]
	s_andn2_b64 exec, exec, s[20:21]
	s_cbranch_execnz .LBB43_3
.LBB43_4:
	s_or_b64 exec, exec, s[18:19]
	s_mov_b64 s[2:3], 0
.LBB43_5:
	s_andn2_b64 vcc, exec, s[2:3]
	s_cbranch_vccnz .LBB43_25
; %bb.6:
	v_cmp_lt_i64_e64 s[0:1], s[16:17], 1
	s_and_b64 vcc, exec, s[0:1]
	s_cbranch_vccnz .LBB43_25
; %bb.7:
	s_load_dword s0, s[4:5], 0xc7c
	v_mov_b32_e32 v2, 0x10000
	v_mov_b32_e32 v3, 0
	v_cmp_lt_u64_e32 vcc, s[16:17], v[2:3]
	v_lshl_or_b32 v2, v0, 4, 8
	s_waitcnt lgkmcnt(0)
	s_and_b32 s27, s0, 0xffff
	s_and_b64 s[0:1], vcc, exec
	v_mov_b32_e32 v6, s23
	v_add_co_u32_e32 v18, vcc, s22, v2
	v_addc_co_u32_e32 v19, vcc, 0, v6, vcc
	v_mov_b32_e32 v7, s7
	v_add_co_u32_e32 v20, vcc, s6, v2
	v_mov_b32_e32 v1, 0
	v_addc_co_u32_e32 v21, vcc, 0, v7, vcc
	v_add_lshl_u32 v8, v0, s27, 4
	v_mov_b32_e32 v3, v1
	v_add_co_u32_e32 v22, vcc, s6, v8
	v_addc_co_u32_e32 v23, vcc, 0, v7, vcc
	v_mad_u64_u32 v[4:5], s[0:1], s27, 48, v[2:3]
	v_add_co_u32_e32 v24, vcc, s22, v4
	v_addc_co_u32_e32 v25, vcc, v6, v5, vcc
	v_add_co_u32_e32 v26, vcc, s22, v8
	v_addc_co_u32_e32 v27, vcc, 0, v6, vcc
	v_add_co_u32_e32 v28, vcc, s6, v4
	s_cselect_b32 s19, s17, 0
	s_cselect_b32 s18, s16, 0x10000
	v_addc_co_u32_e32 v29, vcc, v7, v5, vcc
	s_lshl_b32 s0, s27, 5
	v_add_co_u32_e32 v2, vcc, s0, v2
	v_addc_co_u32_e64 v3, s[0:1], 0, 0, vcc
	v_add_co_u32_e32 v30, vcc, s22, v2
	s_mov_b32 s26, 0
	v_addc_co_u32_e32 v31, vcc, v6, v3, vcc
	s_lshl_b32 s20, s27, 2
	s_mov_b32 s21, s26
	v_add_co_u32_e32 v32, vcc, s6, v2
	s_lshl_b32 s28, s27, 1
	s_mov_b32 s29, s26
	s_mul_i32 s30, s27, 3
	s_mov_b32 s31, s26
	s_lshl_b32 s33, s27, 6
	s_mov_b32 s34, s26
	v_addc_co_u32_e32 v33, vcc, v7, v3, vcc
	v_pk_mov_b32 v[34:35], v[0:1], v[0:1] op_sel:[0,1]
	s_mov_b64 s[22:23], s[20:21]
	s_branch .LBB43_9
.LBB43_8:                               ;   in Loop: Header=BB43_9 Depth=1
	s_or_b64 exec, exec, s[0:1]
	v_pk_mov_b32 v[2:3], s[16:17], s[16:17] op_sel:[0,1]
	v_cmp_ge_i64_e32 vcc, s[22:23], v[2:3]
	v_mov_b32_e32 v2, 0xffff
	v_mov_b32_e32 v3, 0
	v_cmp_gt_u64_e64 s[0:1], s[22:23], v[2:3]
	s_or_b64 s[0:1], vcc, s[0:1]
	v_mov_b32_e32 v0, s21
	v_add_co_u32_e32 v34, vcc, s20, v34
	v_addc_co_u32_e32 v35, vcc, v35, v0, vcc
	v_mov_b32_e32 v0, s34
	v_add_co_u32_e32 v18, vcc, s33, v18
	v_addc_co_u32_e32 v19, vcc, v19, v0, vcc
	v_add_co_u32_e32 v20, vcc, s33, v20
	v_addc_co_u32_e32 v21, vcc, v21, v0, vcc
	;; [unrolled: 2-line block ×7, first 2 shown]
	v_add_co_u32_e32 v32, vcc, s33, v32
	s_add_u32 s22, s22, s20
	v_addc_co_u32_e32 v33, vcc, v33, v0, vcc
	s_addc_u32 s23, s23, 0
	s_and_b64 vcc, exec, s[0:1]
	s_cbranch_vccnz .LBB43_25
.LBB43_9:                               ; =>This Inner Loop Header: Depth=1
	v_pk_mov_b32 v[4:5], 0, 0
	v_cmp_gt_u64_e32 vcc, s[18:19], v[34:35]
	v_pk_mov_b32 v[12:13], v[4:5], v[4:5] op_sel:[0,1]
	v_pk_mov_b32 v[10:11], v[4:5], v[4:5] op_sel:[0,1]
	s_and_saveexec_b64 s[2:3], vcc
	s_cbranch_execz .LBB43_11
; %bb.10:                               ;   in Loop: Header=BB43_9 Depth=1
	v_mov_b32_e32 v0, s15
	v_add_co_u32_e64 v2, s[0:1], s14, v18
	v_addc_co_u32_e64 v3, s[0:1], v19, v0, s[0:1]
	global_load_dwordx4 v[10:13], v[2:3], off offset:-8
.LBB43_11:                              ;   in Loop: Header=BB43_9 Depth=1
	s_or_b64 exec, exec, s[2:3]
	v_mov_b32_e32 v0, s26
	v_add_co_u32_e64 v2, s[0:1], s27, v34
	v_addc_co_u32_e64 v3, s[0:1], v0, v35, s[0:1]
	v_cmp_gt_u64_e64 s[0:1], s[18:19], v[2:3]
	v_pk_mov_b32 v[2:3], v[4:5], v[4:5] op_sel:[0,1]
	s_and_saveexec_b64 s[4:5], s[0:1]
	s_cbranch_execz .LBB43_13
; %bb.12:                               ;   in Loop: Header=BB43_9 Depth=1
	v_mov_b32_e32 v0, s15
	v_add_co_u32_e64 v2, s[2:3], s14, v26
	v_addc_co_u32_e64 v3, s[2:3], v27, v0, s[2:3]
	global_load_dwordx4 v[2:5], v[2:3], off
.LBB43_13:                              ;   in Loop: Header=BB43_9 Depth=1
	s_or_b64 exec, exec, s[4:5]
	v_mov_b32_e32 v0, s29
	v_add_co_u32_e64 v6, s[2:3], s28, v34
	v_addc_co_u32_e64 v7, s[2:3], v0, v35, s[2:3]
	v_pk_mov_b32 v[8:9], 0, 0
	v_cmp_gt_u64_e64 s[2:3], s[18:19], v[6:7]
	v_pk_mov_b32 v[16:17], v[8:9], v[8:9] op_sel:[0,1]
	v_pk_mov_b32 v[14:15], v[8:9], v[8:9] op_sel:[0,1]
	s_and_saveexec_b64 s[6:7], s[2:3]
	s_cbranch_execz .LBB43_15
; %bb.14:                               ;   in Loop: Header=BB43_9 Depth=1
	v_mov_b32_e32 v0, s15
	v_add_co_u32_e64 v6, s[4:5], s14, v30
	v_addc_co_u32_e64 v7, s[4:5], v31, v0, s[4:5]
	global_load_dwordx4 v[14:17], v[6:7], off offset:-8
.LBB43_15:                              ;   in Loop: Header=BB43_9 Depth=1
	s_or_b64 exec, exec, s[6:7]
	v_mov_b32_e32 v0, s31
	v_add_co_u32_e64 v6, s[4:5], s30, v34
	v_addc_co_u32_e64 v7, s[4:5], v0, v35, s[4:5]
	v_cmp_gt_u64_e64 s[4:5], s[18:19], v[6:7]
	v_pk_mov_b32 v[6:7], v[8:9], v[8:9] op_sel:[0,1]
	s_and_saveexec_b64 s[24:25], s[4:5]
	s_cbranch_execz .LBB43_17
; %bb.16:                               ;   in Loop: Header=BB43_9 Depth=1
	v_mov_b32_e32 v0, s15
	v_add_co_u32_e64 v6, s[6:7], s14, v24
	v_addc_co_u32_e64 v7, s[6:7], v25, v0, s[6:7]
	global_load_dwordx4 v[6:9], v[6:7], off offset:-8
.LBB43_17:                              ;   in Loop: Header=BB43_9 Depth=1
	s_or_b64 exec, exec, s[24:25]
	global_load_dwordx4 v[40:43], v1, s[12:13]
	s_waitcnt vmcnt(0)
	v_mul_f64 v[36:37], s[10:11], v[42:43]
	v_mul_f64 v[38:39], s[8:9], v[42:43]
	v_fma_f64 v[36:37], s[8:9], v[40:41], -v[36:37]
	v_fmac_f64_e32 v[38:39], s[10:11], v[40:41]
	s_and_saveexec_b64 s[6:7], vcc
	s_cbranch_execnz .LBB43_21
; %bb.18:                               ;   in Loop: Header=BB43_9 Depth=1
	s_or_b64 exec, exec, s[6:7]
	s_and_saveexec_b64 s[6:7], s[0:1]
	s_cbranch_execnz .LBB43_22
.LBB43_19:                              ;   in Loop: Header=BB43_9 Depth=1
	s_or_b64 exec, exec, s[6:7]
	s_and_saveexec_b64 s[0:1], s[2:3]
	s_cbranch_execnz .LBB43_23
.LBB43_20:                              ;   in Loop: Header=BB43_9 Depth=1
	s_or_b64 exec, exec, s[0:1]
	s_and_saveexec_b64 s[0:1], s[4:5]
	s_cbranch_execz .LBB43_8
	s_branch .LBB43_24
.LBB43_21:                              ;   in Loop: Header=BB43_9 Depth=1
	v_mov_b32_e32 v0, s15
	v_add_co_u32_e32 v44, vcc, s14, v20
	v_mul_f64 v[40:41], v[12:13], v[38:39]
	v_mul_f64 v[42:43], v[10:11], v[38:39]
	v_addc_co_u32_e32 v45, vcc, v21, v0, vcc
	v_fma_f64 v[40:41], v[10:11], v[36:37], -v[40:41]
	v_fmac_f64_e32 v[42:43], v[12:13], v[36:37]
	global_store_dwordx4 v[44:45], v[40:43], off offset:-8
	s_or_b64 exec, exec, s[6:7]
	s_and_saveexec_b64 s[6:7], s[0:1]
	s_cbranch_execz .LBB43_19
.LBB43_22:                              ;   in Loop: Header=BB43_9 Depth=1
	v_mul_f64 v[10:11], v[4:5], v[38:39]
	v_fma_f64 v[10:11], v[2:3], v[36:37], -v[10:11]
	v_mul_f64 v[12:13], v[2:3], v[38:39]
	v_mov_b32_e32 v0, s15
	v_add_co_u32_e32 v2, vcc, s14, v22
	v_fmac_f64_e32 v[12:13], v[4:5], v[36:37]
	v_addc_co_u32_e32 v3, vcc, v23, v0, vcc
	global_store_dwordx4 v[2:3], v[10:13], off
	s_or_b64 exec, exec, s[6:7]
	s_and_saveexec_b64 s[0:1], s[2:3]
	s_cbranch_execz .LBB43_20
.LBB43_23:                              ;   in Loop: Header=BB43_9 Depth=1
	v_mul_f64 v[2:3], v[16:17], v[38:39]
	v_mul_f64 v[4:5], v[14:15], v[38:39]
	v_mov_b32_e32 v0, s15
	v_add_co_u32_e32 v10, vcc, s14, v32
	v_fma_f64 v[2:3], v[14:15], v[36:37], -v[2:3]
	v_fmac_f64_e32 v[4:5], v[16:17], v[36:37]
	v_addc_co_u32_e32 v11, vcc, v33, v0, vcc
	global_store_dwordx4 v[10:11], v[2:5], off offset:-8
	s_or_b64 exec, exec, s[0:1]
	s_and_saveexec_b64 s[0:1], s[4:5]
	s_cbranch_execz .LBB43_8
.LBB43_24:                              ;   in Loop: Header=BB43_9 Depth=1
	v_mul_f64 v[2:3], v[8:9], v[38:39]
	v_fma_f64 v[2:3], v[6:7], v[36:37], -v[2:3]
	v_mul_f64 v[4:5], v[6:7], v[38:39]
	v_mov_b32_e32 v0, s15
	v_add_co_u32_e32 v6, vcc, s14, v28
	v_fmac_f64_e32 v[4:5], v[8:9], v[36:37]
	v_addc_co_u32_e32 v7, vcc, v29, v0, vcc
	global_store_dwordx4 v[6:7], v[2:5], off offset:-8
	s_branch .LBB43_8
.LBB43_25:
	s_endpgm
	.section	.rodata,"a",@progbits
	.p2align	6, 0x0
	.amdhsa_kernel _ZN2at6native12_GLOBAL__N_125multi_tensor_apply_kernelINS1_18TensorListMetadataILi2EEENS1_27BinaryOpScalarTensorFunctorIN3c107complexIdEELi2ELi1ELi1EEEJSt10multipliesIS8_EPS8_S8_EEEvT_T0_DpT1_
		.amdhsa_group_segment_fixed_size 0
		.amdhsa_private_segment_fixed_size 0
		.amdhsa_kernarg_size 3440
		.amdhsa_user_sgpr_count 6
		.amdhsa_user_sgpr_private_segment_buffer 1
		.amdhsa_user_sgpr_dispatch_ptr 0
		.amdhsa_user_sgpr_queue_ptr 0
		.amdhsa_user_sgpr_kernarg_segment_ptr 1
		.amdhsa_user_sgpr_dispatch_id 0
		.amdhsa_user_sgpr_flat_scratch_init 0
		.amdhsa_user_sgpr_kernarg_preload_length 0
		.amdhsa_user_sgpr_kernarg_preload_offset 0
		.amdhsa_user_sgpr_private_segment_size 0
		.amdhsa_uses_dynamic_stack 0
		.amdhsa_system_sgpr_private_segment_wavefront_offset 0
		.amdhsa_system_sgpr_workgroup_id_x 1
		.amdhsa_system_sgpr_workgroup_id_y 0
		.amdhsa_system_sgpr_workgroup_id_z 0
		.amdhsa_system_sgpr_workgroup_info 0
		.amdhsa_system_vgpr_workitem_id 0
		.amdhsa_next_free_vgpr 46
		.amdhsa_next_free_sgpr 35
		.amdhsa_accum_offset 48
		.amdhsa_reserve_vcc 1
		.amdhsa_reserve_flat_scratch 0
		.amdhsa_float_round_mode_32 0
		.amdhsa_float_round_mode_16_64 0
		.amdhsa_float_denorm_mode_32 3
		.amdhsa_float_denorm_mode_16_64 3
		.amdhsa_dx10_clamp 1
		.amdhsa_ieee_mode 1
		.amdhsa_fp16_overflow 0
		.amdhsa_tg_split 0
		.amdhsa_exception_fp_ieee_invalid_op 0
		.amdhsa_exception_fp_denorm_src 0
		.amdhsa_exception_fp_ieee_div_zero 0
		.amdhsa_exception_fp_ieee_overflow 0
		.amdhsa_exception_fp_ieee_underflow 0
		.amdhsa_exception_fp_ieee_inexact 0
		.amdhsa_exception_int_div_zero 0
	.end_amdhsa_kernel
	.section	.text._ZN2at6native12_GLOBAL__N_125multi_tensor_apply_kernelINS1_18TensorListMetadataILi2EEENS1_27BinaryOpScalarTensorFunctorIN3c107complexIdEELi2ELi1ELi1EEEJSt10multipliesIS8_EPS8_S8_EEEvT_T0_DpT1_,"axG",@progbits,_ZN2at6native12_GLOBAL__N_125multi_tensor_apply_kernelINS1_18TensorListMetadataILi2EEENS1_27BinaryOpScalarTensorFunctorIN3c107complexIdEELi2ELi1ELi1EEEJSt10multipliesIS8_EPS8_S8_EEEvT_T0_DpT1_,comdat
.Lfunc_end43:
	.size	_ZN2at6native12_GLOBAL__N_125multi_tensor_apply_kernelINS1_18TensorListMetadataILi2EEENS1_27BinaryOpScalarTensorFunctorIN3c107complexIdEELi2ELi1ELi1EEEJSt10multipliesIS8_EPS8_S8_EEEvT_T0_DpT1_, .Lfunc_end43-_ZN2at6native12_GLOBAL__N_125multi_tensor_apply_kernelINS1_18TensorListMetadataILi2EEENS1_27BinaryOpScalarTensorFunctorIN3c107complexIdEELi2ELi1ELi1EEEJSt10multipliesIS8_EPS8_S8_EEEvT_T0_DpT1_
                                        ; -- End function
	.section	.AMDGPU.csdata,"",@progbits
; Kernel info:
; codeLenInByte = 1624
; NumSgprs: 39
; NumVgprs: 46
; NumAgprs: 0
; TotalNumVgprs: 46
; ScratchSize: 0
; MemoryBound: 1
; FloatMode: 240
; IeeeMode: 1
; LDSByteSize: 0 bytes/workgroup (compile time only)
; SGPRBlocks: 4
; VGPRBlocks: 5
; NumSGPRsForWavesPerEU: 39
; NumVGPRsForWavesPerEU: 46
; AccumOffset: 48
; Occupancy: 8
; WaveLimiterHint : 0
; COMPUTE_PGM_RSRC2:SCRATCH_EN: 0
; COMPUTE_PGM_RSRC2:USER_SGPR: 6
; COMPUTE_PGM_RSRC2:TRAP_HANDLER: 0
; COMPUTE_PGM_RSRC2:TGID_X_EN: 1
; COMPUTE_PGM_RSRC2:TGID_Y_EN: 0
; COMPUTE_PGM_RSRC2:TGID_Z_EN: 0
; COMPUTE_PGM_RSRC2:TIDIG_COMP_CNT: 0
; COMPUTE_PGM_RSRC3_GFX90A:ACCUM_OFFSET: 11
; COMPUTE_PGM_RSRC3_GFX90A:TG_SPLIT: 0
	.section	.text._ZN2at6native12_GLOBAL__N_125multi_tensor_apply_kernelINS1_18TensorListMetadataILi2EEENS1_27BinaryOpScalarTensorFunctorIN3c107complexIfEELi2ELi1ELi1EEEJSt10multipliesIS8_EPS8_S8_EEEvT_T0_DpT1_,"axG",@progbits,_ZN2at6native12_GLOBAL__N_125multi_tensor_apply_kernelINS1_18TensorListMetadataILi2EEENS1_27BinaryOpScalarTensorFunctorIN3c107complexIfEELi2ELi1ELi1EEEJSt10multipliesIS8_EPS8_S8_EEEvT_T0_DpT1_,comdat
	.globl	_ZN2at6native12_GLOBAL__N_125multi_tensor_apply_kernelINS1_18TensorListMetadataILi2EEENS1_27BinaryOpScalarTensorFunctorIN3c107complexIfEELi2ELi1ELi1EEEJSt10multipliesIS8_EPS8_S8_EEEvT_T0_DpT1_ ; -- Begin function _ZN2at6native12_GLOBAL__N_125multi_tensor_apply_kernelINS1_18TensorListMetadataILi2EEENS1_27BinaryOpScalarTensorFunctorIN3c107complexIfEELi2ELi1ELi1EEEJSt10multipliesIS8_EPS8_S8_EEEvT_T0_DpT1_
	.p2align	8
	.type	_ZN2at6native12_GLOBAL__N_125multi_tensor_apply_kernelINS1_18TensorListMetadataILi2EEENS1_27BinaryOpScalarTensorFunctorIN3c107complexIfEELi2ELi1ELi1EEEJSt10multipliesIS8_EPS8_S8_EEEvT_T0_DpT1_,@function
_ZN2at6native12_GLOBAL__N_125multi_tensor_apply_kernelINS1_18TensorListMetadataILi2EEENS1_27BinaryOpScalarTensorFunctorIN3c107complexIfEELi2ELi1ELi1EEEJSt10multipliesIS8_EPS8_S8_EEEvT_T0_DpT1_: ; @_ZN2at6native12_GLOBAL__N_125multi_tensor_apply_kernelINS1_18TensorListMetadataILi2EEENS1_27BinaryOpScalarTensorFunctorIN3c107complexIfEELi2ELi1ELi1EEEJSt10multipliesIS8_EPS8_S8_EEEvT_T0_DpT1_
; %bb.0:
	v_mov_b32_e32 v1, s6
	global_load_ubyte v1, v1, s[4:5] offset:1536
	s_load_dwordx4 s[8:11], s[4:5], 0xc50
	s_add_u32 s0, s4, s6
	s_mul_hi_u32 s2, s6, 3
	s_mul_i32 s6, s6, 3
	s_addc_u32 s7, s5, 0
	s_add_u32 s6, s0, s6
	s_addc_u32 s7, s7, s2
	s_load_dword s14, s[6:7], 0x740
	s_mov_b32 s1, 0
	s_mov_b32 s3, s1
	;; [unrolled: 1-line block ×3, first 2 shown]
	s_waitcnt lgkmcnt(0)
	s_ashr_i32 s15, s14, 31
	s_lshl_b64 s[12:13], s[14:15], 19
	s_waitcnt vmcnt(0)
	v_readfirstlane_b32 s0, v1
	s_lshl_b32 s0, s0, 3
	s_load_dwordx2 s[6:7], s[4:5], s0 offset:0x0
	s_load_dwordx2 s[16:17], s[4:5], s0 offset:0x400
	;; [unrolled: 1-line block ×3, first 2 shown]
	s_waitcnt lgkmcnt(0)
	s_add_u32 s24, s6, s12
	s_addc_u32 s25, s7, s13
	s_add_u32 s26, s20, s12
	s_addc_u32 s27, s21, s13
	s_and_b32 s2, s24, 31
	s_and_b32 s18, s16, 3
	;; [unrolled: 1-line block ×3, first 2 shown]
	s_or_b64 s[2:3], s[2:3], s[18:19]
	s_lshl_b64 s[14:15], s[14:15], 16
	s_or_b64 s[2:3], s[0:1], s[2:3]
	s_sub_u32 s14, s16, s14
	s_subb_u32 s15, s17, s15
	s_cmp_eq_u64 s[2:3], 0
	s_mov_b64 s[2:3], -1
	s_cbranch_scc0 .LBB44_5
; %bb.1:
	v_mov_b32_e32 v3, 0
	v_lshlrev_b32_e32 v2, 2, v0
	v_cmp_gt_i64_e32 vcc, s[14:15], v[2:3]
	s_and_saveexec_b64 s[16:17], vcc
	s_cbranch_execz .LBB44_4
; %bb.2:
	s_load_dword s0, s[4:5], 0xc6c
	v_lshlrev_b32_e32 v4, 5, v0
	s_mov_b64 s[18:19], 0
	s_mov_b64 s[22:23], 0xffff
	v_mov_b32_e32 v1, s1
	s_waitcnt lgkmcnt(0)
	s_and_b32 s0, s0, 0xffff
	v_add_lshl_u32 v2, v0, s0, 2
	s_lshl_b32 s28, s0, 2
	s_lshl_b32 s29, s0, 5
	v_pk_mov_b32 v[6:7], v[2:3], v[2:3] op_sel:[0,1]
.LBB44_3:                               ; =>This Inner Loop Header: Depth=1
	global_load_dwordx2 v[16:17], v3, s[8:9]
	v_mov_b32_e32 v2, s25
	v_add_co_u32_e32 v18, vcc, s24, v4
	v_addc_co_u32_e32 v19, vcc, 0, v2, vcc
	global_load_dwordx4 v[8:11], v[18:19], off
	global_load_dwordx4 v[12:15], v[18:19], off offset:16
	v_cmp_le_i64_e32 vcc, s[14:15], v[6:7]
	v_cmp_lt_u64_e64 s[0:1], s[22:23], v[6:7]
	v_add_co_u32_e64 v6, s[2:3], s28, v6
	s_or_b64 s[0:1], vcc, s[0:1]
	v_addc_co_u32_e64 v7, s[2:3], v7, v1, s[2:3]
	s_add_u32 s24, s24, s29
	v_mov_b32_e32 v2, s27
	v_add_co_u32_e64 v20, s[2:3], s26, v4
	s_addc_u32 s25, s25, 0
	v_addc_co_u32_e64 v21, s[2:3], 0, v2, s[2:3]
	s_add_u32 s26, s26, s29
	s_addc_u32 s27, s27, 0
	s_and_b64 s[0:1], exec, s[0:1]
	s_or_b64 s[18:19], s[0:1], s[18:19]
	s_waitcnt vmcnt(2)
	v_mul_f32_e32 v2, s11, v17
	v_mul_f32_e32 v5, s10, v17
	v_fma_f32 v2, v16, s10, -v2
	v_fmac_f32_e32 v5, s11, v16
	s_waitcnt vmcnt(1)
	v_mul_f32_e32 v16, v9, v5
	v_mul_f32_e32 v17, v9, v2
	;; [unrolled: 1-line block ×4, first 2 shown]
	s_waitcnt vmcnt(0)
	v_mul_f32_e32 v22, v13, v5
	v_mul_f32_e32 v9, v13, v2
	;; [unrolled: 1-line block ×4, first 2 shown]
	v_fma_f32 v16, v8, v2, -v16
	v_fmac_f32_e32 v17, v8, v5
	v_fma_f32 v18, v10, v2, -v18
	v_fmac_f32_e32 v19, v10, v5
	;; [unrolled: 2-line block ×4, first 2 shown]
	global_store_dwordx4 v[20:21], v[16:19], off
	global_store_dwordx4 v[20:21], v[8:11], off offset:16
	s_andn2_b64 exec, exec, s[18:19]
	s_cbranch_execnz .LBB44_3
.LBB44_4:
	s_or_b64 exec, exec, s[16:17]
	s_mov_b64 s[2:3], 0
.LBB44_5:
	s_andn2_b64 vcc, exec, s[2:3]
	s_cbranch_vccnz .LBB44_25
; %bb.6:
	v_cmp_lt_i64_e64 s[0:1], s[14:15], 1
	s_and_b64 vcc, exec, s[0:1]
	s_cbranch_vccnz .LBB44_25
; %bb.7:
	s_load_dword s0, s[4:5], 0xc6c
	v_mov_b32_e32 v2, 0x10000
	v_mov_b32_e32 v3, 0
	v_cmp_lt_u64_e32 vcc, s[14:15], v[2:3]
	v_lshlrev_b32_e32 v10, 3, v0
	s_waitcnt lgkmcnt(0)
	s_and_b32 s24, s0, 0xffff
	s_and_b64 s[0:1], vcc, exec
	v_mov_b32_e32 v17, s7
	v_add_co_u32_e32 v2, vcc, s6, v10
	v_addc_co_u32_e32 v3, vcc, 0, v17, vcc
	v_mov_b32_e32 v14, s21
	v_add_co_u32_e32 v4, vcc, s20, v10
	v_mov_b32_e32 v1, 0
	v_addc_co_u32_e32 v5, vcc, 0, v14, vcc
	v_mov_b32_e32 v11, v1
	v_add_co_u32_e32 v4, vcc, 4, v4
	v_addc_co_u32_e32 v5, vcc, 0, v5, vcc
	v_mad_u64_u32 v[8:9], s[0:1], s24, 24, v[10:11]
	v_add_co_u32_e32 v6, vcc, s6, v8
	v_addc_co_u32_e32 v7, vcc, v17, v9, vcc
	v_add_co_u32_e32 v8, vcc, s20, v8
	v_addc_co_u32_e32 v9, vcc, v9, v14, vcc
	v_add_co_u32_e32 v8, vcc, 4, v8
	s_cselect_b32 s17, s15, 0
	s_cselect_b32 s16, s14, 0x10000
	v_addc_co_u32_e32 v9, vcc, 0, v9, vcc
	s_lshl_b32 s0, s24, 4
	v_add_co_u32_e32 v15, vcc, s0, v10
	v_addc_co_u32_e64 v16, s[0:1], 0, 0, vcc
	v_add_co_u32_e32 v10, vcc, s6, v15
	v_addc_co_u32_e32 v11, vcc, v17, v16, vcc
	v_add_lshl_u32 v18, v0, s24, 3
	v_mov_b32_e32 v13, s21
	v_add_co_u32_e32 v12, vcc, s20, v18
	v_addc_co_u32_e32 v13, vcc, 0, v13, vcc
	v_add_co_u32_e32 v15, vcc, s20, v15
	v_addc_co_u32_e32 v16, vcc, v16, v14, vcc
	v_add_co_u32_e32 v14, vcc, 4, v15
	s_mov_b32 s2, 0
	v_addc_co_u32_e32 v15, vcc, 0, v16, vcc
	s_lshl_b32 s18, s24, 2
	s_mov_b32 s19, s2
	v_add_co_u32_e32 v16, vcc, s6, v18
	s_lshl_b32 s25, s24, 1
	s_mov_b32 s26, s2
	s_mul_i32 s27, s24, 3
	s_mov_b32 s28, s2
	s_lshl_b32 s29, s24, 5
	s_mov_b32 s30, s2
	v_addc_co_u32_e32 v17, vcc, 0, v17, vcc
	v_mov_b32_e32 v28, s2
	v_pk_mov_b32 v[18:19], v[0:1], v[0:1] op_sel:[0,1]
	s_mov_b64 s[20:21], s[18:19]
	s_branch .LBB44_9
.LBB44_8:                               ;   in Loop: Header=BB44_9 Depth=1
	s_or_b64 exec, exec, s[0:1]
	v_pk_mov_b32 v[20:21], s[14:15], s[14:15] op_sel:[0,1]
	v_cmp_ge_i64_e32 vcc, s[20:21], v[20:21]
	v_mov_b32_e32 v20, 0xffff
	v_mov_b32_e32 v21, 0
	v_cmp_gt_u64_e64 s[0:1], s[20:21], v[20:21]
	s_or_b64 s[0:1], vcc, s[0:1]
	v_mov_b32_e32 v0, s30
	v_add_co_u32_e32 v2, vcc, s29, v2
	v_addc_co_u32_e32 v3, vcc, v3, v0, vcc
	v_mov_b32_e32 v20, s19
	v_add_co_u32_e32 v18, vcc, s18, v18
	v_addc_co_u32_e32 v19, vcc, v19, v20, vcc
	v_add_co_u32_e32 v4, vcc, s29, v4
	v_addc_co_u32_e32 v5, vcc, v5, v0, vcc
	;; [unrolled: 2-line block ×7, first 2 shown]
	v_add_co_u32_e32 v16, vcc, s29, v16
	s_add_u32 s20, s20, s18
	v_addc_co_u32_e32 v17, vcc, v17, v0, vcc
	s_addc_u32 s21, s21, 0
	s_and_b64 vcc, exec, s[0:1]
	s_cbranch_vccnz .LBB44_25
.LBB44_9:                               ; =>This Inner Loop Header: Depth=1
	v_cmp_gt_u64_e32 vcc, s[16:17], v[18:19]
	v_mov_b32_e32 v22, 0
	v_mov_b32_e32 v23, 0
	s_and_saveexec_b64 s[2:3], vcc
	s_cbranch_execz .LBB44_11
; %bb.10:                               ;   in Loop: Header=BB44_9 Depth=1
	v_mov_b32_e32 v0, s13
	v_add_co_u32_e64 v20, s[0:1], s12, v2
	v_addc_co_u32_e64 v21, s[0:1], v3, v0, s[0:1]
	global_load_dwordx2 v[22:23], v[20:21], off
.LBB44_11:                              ;   in Loop: Header=BB44_9 Depth=1
	s_or_b64 exec, exec, s[2:3]
	v_add_co_u32_e64 v20, s[0:1], s24, v18
	v_addc_co_u32_e64 v21, s[0:1], v28, v19, s[0:1]
	v_cmp_gt_u64_e64 s[0:1], s[16:17], v[20:21]
	v_mov_b32_e32 v20, 0
	v_mov_b32_e32 v24, 0
	;; [unrolled: 1-line block ×3, first 2 shown]
	s_and_saveexec_b64 s[4:5], s[0:1]
	s_cbranch_execz .LBB44_13
; %bb.12:                               ;   in Loop: Header=BB44_9 Depth=1
	v_mov_b32_e32 v0, s13
	v_add_co_u32_e64 v24, s[2:3], s12, v16
	v_addc_co_u32_e64 v25, s[2:3], v17, v0, s[2:3]
	global_load_dwordx2 v[24:25], v[24:25], off
.LBB44_13:                              ;   in Loop: Header=BB44_9 Depth=1
	s_or_b64 exec, exec, s[4:5]
	v_mov_b32_e32 v0, s26
	v_add_co_u32_e64 v26, s[2:3], s25, v18
	v_addc_co_u32_e64 v27, s[2:3], v0, v19, s[2:3]
	v_cmp_gt_u64_e64 s[2:3], s[16:17], v[26:27]
	v_mov_b32_e32 v21, 0
	s_and_saveexec_b64 s[6:7], s[2:3]
	s_cbranch_execz .LBB44_15
; %bb.14:                               ;   in Loop: Header=BB44_9 Depth=1
	v_mov_b32_e32 v0, s13
	v_add_co_u32_e64 v20, s[4:5], s12, v10
	v_addc_co_u32_e64 v21, s[4:5], v11, v0, s[4:5]
	global_load_dwordx2 v[20:21], v[20:21], off
.LBB44_15:                              ;   in Loop: Header=BB44_9 Depth=1
	s_or_b64 exec, exec, s[6:7]
	v_mov_b32_e32 v0, s28
	v_add_co_u32_e64 v26, s[4:5], s27, v18
	v_addc_co_u32_e64 v27, s[4:5], v0, v19, s[4:5]
	v_cmp_gt_u64_e64 s[4:5], s[16:17], v[26:27]
	v_mov_b32_e32 v26, 0
	v_mov_b32_e32 v27, 0
	s_and_saveexec_b64 s[22:23], s[4:5]
	s_cbranch_execz .LBB44_17
; %bb.16:                               ;   in Loop: Header=BB44_9 Depth=1
	v_mov_b32_e32 v0, s13
	v_add_co_u32_e64 v26, s[6:7], s12, v6
	v_addc_co_u32_e64 v27, s[6:7], v7, v0, s[6:7]
	global_load_dwordx2 v[26:27], v[26:27], off
.LBB44_17:                              ;   in Loop: Header=BB44_9 Depth=1
	s_or_b64 exec, exec, s[22:23]
	global_load_dwordx2 v[30:31], v1, s[8:9]
	s_waitcnt vmcnt(0)
	v_mul_f32_e32 v29, s11, v31
	v_mul_f32_e32 v0, s10, v31
	v_fma_f32 v29, v30, s10, -v29
	v_fmac_f32_e32 v0, s11, v30
	s_and_saveexec_b64 s[6:7], vcc
	s_cbranch_execnz .LBB44_21
; %bb.18:                               ;   in Loop: Header=BB44_9 Depth=1
	s_or_b64 exec, exec, s[6:7]
	s_and_saveexec_b64 s[6:7], s[0:1]
	s_cbranch_execnz .LBB44_22
.LBB44_19:                              ;   in Loop: Header=BB44_9 Depth=1
	s_or_b64 exec, exec, s[6:7]
	s_and_saveexec_b64 s[0:1], s[2:3]
	s_cbranch_execnz .LBB44_23
.LBB44_20:                              ;   in Loop: Header=BB44_9 Depth=1
	s_or_b64 exec, exec, s[0:1]
	s_and_saveexec_b64 s[0:1], s[4:5]
	s_cbranch_execz .LBB44_8
	s_branch .LBB44_24
.LBB44_21:                              ;   in Loop: Header=BB44_9 Depth=1
	v_mov_b32_e32 v31, s13
	v_add_co_u32_e32 v30, vcc, s12, v4
	v_mul_f32_e32 v32, v23, v0
	v_mul_f32_e32 v33, v23, v29
	v_addc_co_u32_e32 v31, vcc, v5, v31, vcc
	v_fma_f32 v32, v22, v29, -v32
	v_fmac_f32_e32 v33, v22, v0
	global_store_dwordx2 v[30:31], v[32:33], off offset:-4
	s_or_b64 exec, exec, s[6:7]
	s_and_saveexec_b64 s[6:7], s[0:1]
	s_cbranch_execz .LBB44_19
.LBB44_22:                              ;   in Loop: Header=BB44_9 Depth=1
	v_mul_f32_e32 v22, v25, v0
	v_mul_f32_e32 v23, v25, v29
	v_fma_f32 v22, v24, v29, -v22
	v_fmac_f32_e32 v23, v24, v0
	v_mov_b32_e32 v25, s13
	v_add_co_u32_e32 v24, vcc, s12, v12
	v_addc_co_u32_e32 v25, vcc, v13, v25, vcc
	global_store_dwordx2 v[24:25], v[22:23], off
	s_or_b64 exec, exec, s[6:7]
	s_and_saveexec_b64 s[0:1], s[2:3]
	s_cbranch_execz .LBB44_20
.LBB44_23:                              ;   in Loop: Header=BB44_9 Depth=1
	v_mul_f32_e32 v22, v21, v0
	v_mul_f32_e32 v23, v21, v29
	v_fma_f32 v22, v20, v29, -v22
	v_fmac_f32_e32 v23, v20, v0
	v_mov_b32_e32 v21, s13
	v_add_co_u32_e32 v20, vcc, s12, v14
	v_addc_co_u32_e32 v21, vcc, v15, v21, vcc
	global_store_dwordx2 v[20:21], v[22:23], off offset:-4
	s_or_b64 exec, exec, s[0:1]
	s_and_saveexec_b64 s[0:1], s[4:5]
	s_cbranch_execz .LBB44_8
.LBB44_24:                              ;   in Loop: Header=BB44_9 Depth=1
	v_mul_f32_e32 v21, v27, v29
	v_mul_f32_e32 v20, v27, v0
	v_fmac_f32_e32 v21, v26, v0
	v_mov_b32_e32 v0, s13
	v_add_co_u32_e32 v22, vcc, s12, v8
	v_fma_f32 v20, v26, v29, -v20
	v_addc_co_u32_e32 v23, vcc, v9, v0, vcc
	global_store_dwordx2 v[22:23], v[20:21], off offset:-4
	s_branch .LBB44_8
.LBB44_25:
	s_endpgm
	.section	.rodata,"a",@progbits
	.p2align	6, 0x0
	.amdhsa_kernel _ZN2at6native12_GLOBAL__N_125multi_tensor_apply_kernelINS1_18TensorListMetadataILi2EEENS1_27BinaryOpScalarTensorFunctorIN3c107complexIfEELi2ELi1ELi1EEEJSt10multipliesIS8_EPS8_S8_EEEvT_T0_DpT1_
		.amdhsa_group_segment_fixed_size 0
		.amdhsa_private_segment_fixed_size 0
		.amdhsa_kernarg_size 3424
		.amdhsa_user_sgpr_count 6
		.amdhsa_user_sgpr_private_segment_buffer 1
		.amdhsa_user_sgpr_dispatch_ptr 0
		.amdhsa_user_sgpr_queue_ptr 0
		.amdhsa_user_sgpr_kernarg_segment_ptr 1
		.amdhsa_user_sgpr_dispatch_id 0
		.amdhsa_user_sgpr_flat_scratch_init 0
		.amdhsa_user_sgpr_kernarg_preload_length 0
		.amdhsa_user_sgpr_kernarg_preload_offset 0
		.amdhsa_user_sgpr_private_segment_size 0
		.amdhsa_uses_dynamic_stack 0
		.amdhsa_system_sgpr_private_segment_wavefront_offset 0
		.amdhsa_system_sgpr_workgroup_id_x 1
		.amdhsa_system_sgpr_workgroup_id_y 0
		.amdhsa_system_sgpr_workgroup_id_z 0
		.amdhsa_system_sgpr_workgroup_info 0
		.amdhsa_system_vgpr_workitem_id 0
		.amdhsa_next_free_vgpr 34
		.amdhsa_next_free_sgpr 31
		.amdhsa_accum_offset 36
		.amdhsa_reserve_vcc 1
		.amdhsa_reserve_flat_scratch 0
		.amdhsa_float_round_mode_32 0
		.amdhsa_float_round_mode_16_64 0
		.amdhsa_float_denorm_mode_32 3
		.amdhsa_float_denorm_mode_16_64 3
		.amdhsa_dx10_clamp 1
		.amdhsa_ieee_mode 1
		.amdhsa_fp16_overflow 0
		.amdhsa_tg_split 0
		.amdhsa_exception_fp_ieee_invalid_op 0
		.amdhsa_exception_fp_denorm_src 0
		.amdhsa_exception_fp_ieee_div_zero 0
		.amdhsa_exception_fp_ieee_overflow 0
		.amdhsa_exception_fp_ieee_underflow 0
		.amdhsa_exception_fp_ieee_inexact 0
		.amdhsa_exception_int_div_zero 0
	.end_amdhsa_kernel
	.section	.text._ZN2at6native12_GLOBAL__N_125multi_tensor_apply_kernelINS1_18TensorListMetadataILi2EEENS1_27BinaryOpScalarTensorFunctorIN3c107complexIfEELi2ELi1ELi1EEEJSt10multipliesIS8_EPS8_S8_EEEvT_T0_DpT1_,"axG",@progbits,_ZN2at6native12_GLOBAL__N_125multi_tensor_apply_kernelINS1_18TensorListMetadataILi2EEENS1_27BinaryOpScalarTensorFunctorIN3c107complexIfEELi2ELi1ELi1EEEJSt10multipliesIS8_EPS8_S8_EEEvT_T0_DpT1_,comdat
.Lfunc_end44:
	.size	_ZN2at6native12_GLOBAL__N_125multi_tensor_apply_kernelINS1_18TensorListMetadataILi2EEENS1_27BinaryOpScalarTensorFunctorIN3c107complexIfEELi2ELi1ELi1EEEJSt10multipliesIS8_EPS8_S8_EEEvT_T0_DpT1_, .Lfunc_end44-_ZN2at6native12_GLOBAL__N_125multi_tensor_apply_kernelINS1_18TensorListMetadataILi2EEENS1_27BinaryOpScalarTensorFunctorIN3c107complexIfEELi2ELi1ELi1EEEJSt10multipliesIS8_EPS8_S8_EEEvT_T0_DpT1_
                                        ; -- End function
	.section	.AMDGPU.csdata,"",@progbits
; Kernel info:
; codeLenInByte = 1488
; NumSgprs: 35
; NumVgprs: 34
; NumAgprs: 0
; TotalNumVgprs: 34
; ScratchSize: 0
; MemoryBound: 0
; FloatMode: 240
; IeeeMode: 1
; LDSByteSize: 0 bytes/workgroup (compile time only)
; SGPRBlocks: 4
; VGPRBlocks: 4
; NumSGPRsForWavesPerEU: 35
; NumVGPRsForWavesPerEU: 34
; AccumOffset: 36
; Occupancy: 8
; WaveLimiterHint : 0
; COMPUTE_PGM_RSRC2:SCRATCH_EN: 0
; COMPUTE_PGM_RSRC2:USER_SGPR: 6
; COMPUTE_PGM_RSRC2:TRAP_HANDLER: 0
; COMPUTE_PGM_RSRC2:TGID_X_EN: 1
; COMPUTE_PGM_RSRC2:TGID_Y_EN: 0
; COMPUTE_PGM_RSRC2:TGID_Z_EN: 0
; COMPUTE_PGM_RSRC2:TIDIG_COMP_CNT: 0
; COMPUTE_PGM_RSRC3_GFX90A:ACCUM_OFFSET: 8
; COMPUTE_PGM_RSRC3_GFX90A:TG_SPLIT: 0
	.section	.text._ZN2at6native12_GLOBAL__N_125multi_tensor_apply_kernelINS1_18TensorListMetadataILi2EEENS1_27BinaryOpScalarTensorFunctorIbLi2ELi1ELi1EEEJSt10multipliesIbEPbbEEEvT_T0_DpT1_,"axG",@progbits,_ZN2at6native12_GLOBAL__N_125multi_tensor_apply_kernelINS1_18TensorListMetadataILi2EEENS1_27BinaryOpScalarTensorFunctorIbLi2ELi1ELi1EEEJSt10multipliesIbEPbbEEEvT_T0_DpT1_,comdat
	.globl	_ZN2at6native12_GLOBAL__N_125multi_tensor_apply_kernelINS1_18TensorListMetadataILi2EEENS1_27BinaryOpScalarTensorFunctorIbLi2ELi1ELi1EEEJSt10multipliesIbEPbbEEEvT_T0_DpT1_ ; -- Begin function _ZN2at6native12_GLOBAL__N_125multi_tensor_apply_kernelINS1_18TensorListMetadataILi2EEENS1_27BinaryOpScalarTensorFunctorIbLi2ELi1ELi1EEEJSt10multipliesIbEPbbEEEvT_T0_DpT1_
	.p2align	8
	.type	_ZN2at6native12_GLOBAL__N_125multi_tensor_apply_kernelINS1_18TensorListMetadataILi2EEENS1_27BinaryOpScalarTensorFunctorIbLi2ELi1ELi1EEEJSt10multipliesIbEPbbEEEvT_T0_DpT1_,@function
_ZN2at6native12_GLOBAL__N_125multi_tensor_apply_kernelINS1_18TensorListMetadataILi2EEENS1_27BinaryOpScalarTensorFunctorIbLi2ELi1ELi1EEEJSt10multipliesIbEPbbEEEvT_T0_DpT1_: ; @_ZN2at6native12_GLOBAL__N_125multi_tensor_apply_kernelINS1_18TensorListMetadataILi2EEENS1_27BinaryOpScalarTensorFunctorIbLi2ELi1ELi1EEEJSt10multipliesIbEPbbEEEvT_T0_DpT1_
; %bb.0:
	v_mov_b32_e32 v1, s6
	global_load_ubyte v1, v1, s[4:5] offset:1536
	s_load_dword s0, s[4:5], 0xc58
	s_mul_i32 s2, s6, 3
	s_mul_hi_u32 s1, s6, 3
	s_waitcnt lgkmcnt(0)
	s_bitcmp1_b32 s0, 0
	s_cselect_b64 s[8:9], -1, 0
	s_add_u32 s0, s4, s6
	s_addc_u32 s3, s5, 0
	s_add_u32 s0, s0, s2
	s_addc_u32 s1, s3, s1
	s_load_dword s0, s[0:1], 0x740
	s_waitcnt vmcnt(0)
	v_readfirstlane_b32 s1, v1
	s_lshl_b32 s1, s1, 3
	s_load_dwordx2 s[14:15], s[4:5], s1 offset:0x0
	s_load_dwordx2 s[10:11], s[4:5], 0xc50
	s_load_dwordx2 s[6:7], s[4:5], s1 offset:0x400
	s_load_dwordx2 s[16:17], s[4:5], s1 offset:0x200
	s_waitcnt lgkmcnt(0)
	s_ashr_i32 s1, s0, 31
	s_lshl_b64 s[20:21], s[0:1], 16
	s_add_u32 s12, s14, s20
	s_addc_u32 s13, s15, s21
	s_add_u32 s28, s16, s20
	s_addc_u32 s2, s17, s21
	s_or_b64 s[0:1], s[6:7], s[12:13]
	s_or_b32 s0, s28, s0
	s_and_b32 s0, s0, 3
	s_sub_u32 s18, s6, s20
	s_subb_u32 s19, s7, s21
	s_cmp_eq_u32 s0, 0
	s_mov_b64 s[0:1], -1
	s_cbranch_scc0 .LBB45_5
; %bb.1:
	v_lshlrev_b32_e32 v2, 2, v0
	v_mov_b32_e32 v3, 0
	v_cmp_gt_i64_e32 vcc, s[18:19], v[2:3]
	s_and_saveexec_b64 s[22:23], vcc
	s_cbranch_execz .LBB45_4
; %bb.2:
	s_load_dword s0, s[4:5], 0xc6c
	s_mov_b32 s1, 0
	s_mov_b64 s[24:25], 0
	v_mov_b32_e32 v1, s13
	s_mov_b32 s13, 0xffffff
	s_waitcnt lgkmcnt(0)
	s_and_b32 s0, s0, 0xffff
	s_lshl_b32 s29, s0, 2
	v_mov_b32_e32 v6, s2
	v_mov_b32_e32 v7, 0x1000000
	;; [unrolled: 1-line block ×5, first 2 shown]
	s_mov_b64 s[26:27], 0xffff
	v_pk_mov_b32 v[4:5], v[2:3], v[2:3] op_sel:[0,1]
.LBB45_3:                               ; =>This Inner Loop Header: Depth=1
	v_add_co_u32_e32 v12, vcc, s12, v4
	v_addc_co_u32_e32 v13, vcc, v1, v5, vcc
	global_load_dword v2, v[12:13], off
	global_load_ubyte v11, v3, s[10:11]
	v_add_co_u32_e32 v12, vcc, s28, v4
	v_addc_co_u32_e32 v13, vcc, v6, v5, vcc
	v_add_co_u32_e32 v4, vcc, s29, v4
	v_addc_co_u32_e32 v5, vcc, v10, v5, vcc
	v_cmp_le_i64_e32 vcc, s[18:19], v[4:5]
	v_cmp_lt_u64_e64 s[0:1], s[26:27], v[4:5]
	s_or_b64 s[30:31], vcc, s[0:1]
	s_waitcnt vmcnt(1)
	v_cmp_ne_u32_sdwa s[2:3], v2, v3 src0_sel:BYTE_0 src1_sel:DWORD
	s_waitcnt vmcnt(0)
	v_cmp_ne_u16_e32 vcc, 0, v11
	v_and_b32_e32 v11, 0xff00, v2
	v_and_b32_e32 v14, 0xff0000, v2
	v_cmp_lt_u32_e64 s[0:1], s13, v2
	s_and_b64 s[34:35], s[2:3], vcc
	v_cmp_ne_u32_e64 s[2:3], 0, v11
	v_cmp_ne_u32_e64 s[6:7], 0, v14
	s_and_b64 s[0:1], s[0:1], vcc
	s_and_b64 s[2:3], s[2:3], vcc
	;; [unrolled: 1-line block ×3, first 2 shown]
	s_and_b64 vcc, s[0:1], s[8:9]
	v_cndmask_b32_e32 v2, 0, v7, vcc
	s_and_b64 vcc, s[6:7], s[8:9]
	s_and_b64 s[0:1], s[34:35], s[8:9]
	v_cndmask_b32_e32 v14, 0, v8, vcc
	s_and_b64 vcc, s[2:3], s[8:9]
	v_cndmask_b32_e64 v11, 0, 1, s[0:1]
	v_cndmask_b32_e32 v15, 0, v9, vcc
	v_or_b32_e32 v2, v2, v14
	s_and_b64 s[0:1], exec, s[30:31]
	v_or3_b32 v2, v2, v15, v11
	s_or_b64 s[24:25], s[0:1], s[24:25]
	global_store_dword v[12:13], v2, off
	s_andn2_b64 exec, exec, s[24:25]
	s_cbranch_execnz .LBB45_3
.LBB45_4:
	s_or_b64 exec, exec, s[22:23]
	s_mov_b64 s[0:1], 0
.LBB45_5:
	s_andn2_b64 vcc, exec, s[0:1]
	s_cbranch_vccnz .LBB45_25
; %bb.6:
	v_cmp_lt_i64_e64 s[0:1], s[18:19], 1
	s_and_b64 vcc, exec, s[0:1]
	s_cbranch_vccnz .LBB45_25
; %bb.7:
	s_load_dword s0, s[4:5], 0xc6c
	v_mov_b32_e32 v2, 0x10000
	v_mov_b32_e32 v3, 0
	v_cmp_lt_u64_e32 vcc, s[18:19], v[2:3]
	v_mov_b32_e32 v2, s21
	s_waitcnt lgkmcnt(0)
	s_and_b32 s2, s0, 0xffff
	s_and_b64 s[0:1], vcc, exec
	v_add_co_u32_e32 v3, vcc, s20, v0
	v_addc_co_u32_e32 v2, vcc, 0, v2, vcc
	v_mov_b32_e32 v21, s15
	v_add_co_u32_e32 v4, vcc, s14, v3
	s_cselect_b32 s13, s19, 0
	s_cselect_b32 s12, s18, 0x10000
	s_lshl_b32 s3, s2, 1
	s_mul_i32 s0, s2, 3
	s_lshl_b32 s22, s2, 2
	v_addc_co_u32_e32 v5, vcc, v21, v2, vcc
	v_mov_b32_e32 v23, s17
	v_add_co_u32_e32 v6, vcc, s16, v3
	s_add_u32 s1, s20, s0
	v_addc_co_u32_e32 v7, vcc, v23, v2, vcc
	s_addc_u32 s4, s21, 0
	v_mov_b32_e32 v8, s4
	v_add_co_u32_e32 v10, vcc, s1, v0
	v_addc_co_u32_e32 v11, vcc, 0, v8, vcc
	v_add_co_u32_e32 v8, vcc, s14, v10
	v_addc_co_u32_e32 v9, vcc, v21, v11, vcc
	v_add_co_u32_e32 v10, vcc, s16, v10
	v_addc_co_u32_e32 v11, vcc, v23, v11, vcc
	v_add_co_u32_e32 v12, vcc, s0, v0
	v_addc_co_u32_e64 v13, s[0:1], 0, 0, vcc
	s_add_u32 s0, s20, s3
	s_addc_u32 s1, s21, 0
	v_mov_b32_e32 v14, s1
	v_add_co_u32_e32 v16, vcc, s0, v0
	v_addc_co_u32_e32 v17, vcc, 0, v14, vcc
	v_add_co_u32_e32 v14, vcc, s14, v16
	v_addc_co_u32_e32 v15, vcc, v21, v17, vcc
	;; [unrolled: 2-line block ×3, first 2 shown]
	v_add_co_u32_e32 v18, vcc, s3, v0
	v_addc_co_u32_e64 v19, s[0:1], 0, 0, vcc
	v_add_co_u32_e32 v3, vcc, s2, v3
	v_addc_co_u32_e32 v2, vcc, 0, v2, vcc
	v_add_co_u32_e32 v20, vcc, s14, v3
	v_addc_co_u32_e32 v21, vcc, v21, v2, vcc
	v_add_co_u32_e32 v22, vcc, s16, v3
	v_addc_co_u32_e32 v23, vcc, v23, v2, vcc
	v_add_co_u32_e32 v24, vcc, s2, v0
	v_mov_b32_e32 v1, 0
	v_addc_co_u32_e64 v25, s[0:1], 0, 0, vcc
	s_mov_b64 s[14:15], 0
	v_pk_mov_b32 v[2:3], s[18:19], s[18:19] op_sel:[0,1]
	s_branch .LBB45_9
.LBB45_8:                               ;   in Loop: Header=BB45_9 Depth=1
	s_or_b64 exec, exec, s[0:1]
	s_add_u32 s14, s14, s22
	v_mov_b32_e32 v26, 0xffff
	s_addc_u32 s15, s15, 0
	v_mov_b32_e32 v27, 0
	v_cmp_ge_i64_e32 vcc, s[14:15], v[2:3]
	v_cmp_gt_u64_e64 s[0:1], s[14:15], v[26:27]
	s_or_b64 s[0:1], vcc, s[0:1]
	s_and_b64 vcc, exec, s[0:1]
	s_cbranch_vccnz .LBB45_25
.LBB45_9:                               ; =>This Inner Loop Header: Depth=1
	v_mov_b32_e32 v27, s15
	v_add_co_u32_e32 v26, vcc, s14, v0
	v_addc_co_u32_e32 v27, vcc, 0, v27, vcc
	v_cmp_gt_u64_e32 vcc, s[12:13], v[26:27]
	v_mov_b32_e32 v27, 0
	s_and_saveexec_b64 s[2:3], vcc
	s_cbranch_execz .LBB45_11
; %bb.10:                               ;   in Loop: Header=BB45_9 Depth=1
	v_mov_b32_e32 v27, s15
	v_add_co_u32_e64 v26, s[0:1], s14, v4
	v_addc_co_u32_e64 v27, s[0:1], v5, v27, s[0:1]
	global_load_ubyte v27, v[26:27], off
.LBB45_11:                              ;   in Loop: Header=BB45_9 Depth=1
	s_or_b64 exec, exec, s[2:3]
	v_mov_b32_e32 v26, s15
	v_add_co_u32_e64 v28, s[0:1], s14, v24
	v_addc_co_u32_e64 v29, s[0:1], v25, v26, s[0:1]
	v_cmp_gt_u64_e64 s[0:1], s[12:13], v[28:29]
	v_mov_b32_e32 v26, 0
	v_mov_b32_e32 v28, 0
	s_and_saveexec_b64 s[4:5], s[0:1]
	s_cbranch_execz .LBB45_13
; %bb.12:                               ;   in Loop: Header=BB45_9 Depth=1
	v_mov_b32_e32 v29, s15
	v_add_co_u32_e64 v28, s[2:3], s14, v20
	v_addc_co_u32_e64 v29, s[2:3], v21, v29, s[2:3]
	global_load_ubyte v28, v[28:29], off
.LBB45_13:                              ;   in Loop: Header=BB45_9 Depth=1
	s_or_b64 exec, exec, s[4:5]
	v_mov_b32_e32 v29, s15
	v_add_co_u32_e64 v30, s[2:3], s14, v18
	v_addc_co_u32_e64 v31, s[2:3], v19, v29, s[2:3]
	v_cmp_gt_u64_e64 s[2:3], s[12:13], v[30:31]
	s_and_saveexec_b64 s[6:7], s[2:3]
	s_cbranch_execz .LBB45_15
; %bb.14:                               ;   in Loop: Header=BB45_9 Depth=1
	v_mov_b32_e32 v26, s15
	v_add_co_u32_e64 v30, s[4:5], s14, v14
	v_addc_co_u32_e64 v31, s[4:5], v15, v26, s[4:5]
	global_load_ubyte v26, v[30:31], off
.LBB45_15:                              ;   in Loop: Header=BB45_9 Depth=1
	s_or_b64 exec, exec, s[6:7]
	v_mov_b32_e32 v29, s15
	v_add_co_u32_e64 v30, s[4:5], s14, v12
	v_addc_co_u32_e64 v31, s[4:5], v13, v29, s[4:5]
	v_cmp_gt_u64_e64 s[4:5], s[12:13], v[30:31]
	v_mov_b32_e32 v29, 0
	s_and_saveexec_b64 s[16:17], s[4:5]
	s_cbranch_execz .LBB45_17
; %bb.16:                               ;   in Loop: Header=BB45_9 Depth=1
	v_mov_b32_e32 v29, s15
	v_add_co_u32_e64 v30, s[6:7], s14, v8
	v_addc_co_u32_e64 v31, s[6:7], v9, v29, s[6:7]
	global_load_ubyte v29, v[30:31], off
.LBB45_17:                              ;   in Loop: Header=BB45_9 Depth=1
	s_or_b64 exec, exec, s[16:17]
	global_load_ubyte v30, v1, s[10:11]
	s_waitcnt vmcnt(0)
	v_cmp_ne_u16_e64 s[6:7], 0, v30
	s_and_saveexec_b64 s[16:17], vcc
	s_cbranch_execnz .LBB45_21
; %bb.18:                               ;   in Loop: Header=BB45_9 Depth=1
	s_or_b64 exec, exec, s[16:17]
	s_and_saveexec_b64 s[16:17], s[0:1]
	s_cbranch_execnz .LBB45_22
.LBB45_19:                              ;   in Loop: Header=BB45_9 Depth=1
	s_or_b64 exec, exec, s[16:17]
	s_and_saveexec_b64 s[0:1], s[2:3]
	s_cbranch_execnz .LBB45_23
.LBB45_20:                              ;   in Loop: Header=BB45_9 Depth=1
	s_or_b64 exec, exec, s[0:1]
	s_and_saveexec_b64 s[0:1], s[4:5]
	s_cbranch_execz .LBB45_8
	s_branch .LBB45_24
.LBB45_21:                              ;   in Loop: Header=BB45_9 Depth=1
	v_cmp_ne_u16_sdwa s[18:19], v27, v1 src0_sel:BYTE_0 src1_sel:DWORD
	s_and_b64 s[18:19], s[18:19], s[6:7]
	v_mov_b32_e32 v31, s15
	v_add_co_u32_e32 v30, vcc, s14, v6
	s_and_b64 s[18:19], s[18:19], s[8:9]
	v_addc_co_u32_e32 v31, vcc, v7, v31, vcc
	v_cndmask_b32_e64 v27, 0, 1, s[18:19]
	global_store_byte v[30:31], v27, off
	s_or_b64 exec, exec, s[16:17]
	s_and_saveexec_b64 s[16:17], s[0:1]
	s_cbranch_execz .LBB45_19
.LBB45_22:                              ;   in Loop: Header=BB45_9 Depth=1
	v_cmp_ne_u16_sdwa s[0:1], v28, v1 src0_sel:BYTE_0 src1_sel:DWORD
	s_and_b64 s[0:1], s[0:1], s[6:7]
	s_and_b64 s[0:1], s[0:1], s[8:9]
	v_mov_b32_e32 v28, s15
	v_add_co_u32_e32 v30, vcc, s14, v22
	v_cndmask_b32_e64 v27, 0, 1, s[0:1]
	v_addc_co_u32_e32 v31, vcc, v23, v28, vcc
	global_store_byte v[30:31], v27, off
	s_or_b64 exec, exec, s[16:17]
	s_and_saveexec_b64 s[0:1], s[2:3]
	s_cbranch_execz .LBB45_20
.LBB45_23:                              ;   in Loop: Header=BB45_9 Depth=1
	v_cmp_ne_u16_sdwa s[2:3], v26, v1 src0_sel:BYTE_0 src1_sel:DWORD
	s_and_b64 s[2:3], s[2:3], s[6:7]
	s_and_b64 s[2:3], s[2:3], s[8:9]
	v_mov_b32_e32 v27, s15
	v_add_co_u32_e32 v26, vcc, s14, v16
	v_cndmask_b32_e64 v28, 0, 1, s[2:3]
	v_addc_co_u32_e32 v27, vcc, v17, v27, vcc
	global_store_byte v[26:27], v28, off
	s_or_b64 exec, exec, s[0:1]
	s_and_saveexec_b64 s[0:1], s[4:5]
	s_cbranch_execz .LBB45_8
.LBB45_24:                              ;   in Loop: Header=BB45_9 Depth=1
	v_cmp_ne_u16_sdwa s[2:3], v29, v1 src0_sel:BYTE_0 src1_sel:DWORD
	s_and_b64 s[2:3], s[2:3], s[6:7]
	s_and_b64 s[2:3], s[2:3], s[8:9]
	v_mov_b32_e32 v27, s15
	v_add_co_u32_e32 v26, vcc, s14, v10
	v_cndmask_b32_e64 v28, 0, 1, s[2:3]
	v_addc_co_u32_e32 v27, vcc, v11, v27, vcc
	global_store_byte v[26:27], v28, off
	s_branch .LBB45_8
.LBB45_25:
	s_endpgm
	.section	.rodata,"a",@progbits
	.p2align	6, 0x0
	.amdhsa_kernel _ZN2at6native12_GLOBAL__N_125multi_tensor_apply_kernelINS1_18TensorListMetadataILi2EEENS1_27BinaryOpScalarTensorFunctorIbLi2ELi1ELi1EEEJSt10multipliesIbEPbbEEEvT_T0_DpT1_
		.amdhsa_group_segment_fixed_size 0
		.amdhsa_private_segment_fixed_size 0
		.amdhsa_kernarg_size 3424
		.amdhsa_user_sgpr_count 6
		.amdhsa_user_sgpr_private_segment_buffer 1
		.amdhsa_user_sgpr_dispatch_ptr 0
		.amdhsa_user_sgpr_queue_ptr 0
		.amdhsa_user_sgpr_kernarg_segment_ptr 1
		.amdhsa_user_sgpr_dispatch_id 0
		.amdhsa_user_sgpr_flat_scratch_init 0
		.amdhsa_user_sgpr_kernarg_preload_length 0
		.amdhsa_user_sgpr_kernarg_preload_offset 0
		.amdhsa_user_sgpr_private_segment_size 0
		.amdhsa_uses_dynamic_stack 0
		.amdhsa_system_sgpr_private_segment_wavefront_offset 0
		.amdhsa_system_sgpr_workgroup_id_x 1
		.amdhsa_system_sgpr_workgroup_id_y 0
		.amdhsa_system_sgpr_workgroup_id_z 0
		.amdhsa_system_sgpr_workgroup_info 0
		.amdhsa_system_vgpr_workitem_id 0
		.amdhsa_next_free_vgpr 32
		.amdhsa_next_free_sgpr 36
		.amdhsa_accum_offset 32
		.amdhsa_reserve_vcc 1
		.amdhsa_reserve_flat_scratch 0
		.amdhsa_float_round_mode_32 0
		.amdhsa_float_round_mode_16_64 0
		.amdhsa_float_denorm_mode_32 3
		.amdhsa_float_denorm_mode_16_64 3
		.amdhsa_dx10_clamp 1
		.amdhsa_ieee_mode 1
		.amdhsa_fp16_overflow 0
		.amdhsa_tg_split 0
		.amdhsa_exception_fp_ieee_invalid_op 0
		.amdhsa_exception_fp_denorm_src 0
		.amdhsa_exception_fp_ieee_div_zero 0
		.amdhsa_exception_fp_ieee_overflow 0
		.amdhsa_exception_fp_ieee_underflow 0
		.amdhsa_exception_fp_ieee_inexact 0
		.amdhsa_exception_int_div_zero 0
	.end_amdhsa_kernel
	.section	.text._ZN2at6native12_GLOBAL__N_125multi_tensor_apply_kernelINS1_18TensorListMetadataILi2EEENS1_27BinaryOpScalarTensorFunctorIbLi2ELi1ELi1EEEJSt10multipliesIbEPbbEEEvT_T0_DpT1_,"axG",@progbits,_ZN2at6native12_GLOBAL__N_125multi_tensor_apply_kernelINS1_18TensorListMetadataILi2EEENS1_27BinaryOpScalarTensorFunctorIbLi2ELi1ELi1EEEJSt10multipliesIbEPbbEEEvT_T0_DpT1_,comdat
.Lfunc_end45:
	.size	_ZN2at6native12_GLOBAL__N_125multi_tensor_apply_kernelINS1_18TensorListMetadataILi2EEENS1_27BinaryOpScalarTensorFunctorIbLi2ELi1ELi1EEEJSt10multipliesIbEPbbEEEvT_T0_DpT1_, .Lfunc_end45-_ZN2at6native12_GLOBAL__N_125multi_tensor_apply_kernelINS1_18TensorListMetadataILi2EEENS1_27BinaryOpScalarTensorFunctorIbLi2ELi1ELi1EEEJSt10multipliesIbEPbbEEEvT_T0_DpT1_
                                        ; -- End function
	.section	.AMDGPU.csdata,"",@progbits
; Kernel info:
; codeLenInByte = 1380
; NumSgprs: 40
; NumVgprs: 32
; NumAgprs: 0
; TotalNumVgprs: 32
; ScratchSize: 0
; MemoryBound: 0
; FloatMode: 240
; IeeeMode: 1
; LDSByteSize: 0 bytes/workgroup (compile time only)
; SGPRBlocks: 4
; VGPRBlocks: 3
; NumSGPRsForWavesPerEU: 40
; NumVGPRsForWavesPerEU: 32
; AccumOffset: 32
; Occupancy: 8
; WaveLimiterHint : 0
; COMPUTE_PGM_RSRC2:SCRATCH_EN: 0
; COMPUTE_PGM_RSRC2:USER_SGPR: 6
; COMPUTE_PGM_RSRC2:TRAP_HANDLER: 0
; COMPUTE_PGM_RSRC2:TGID_X_EN: 1
; COMPUTE_PGM_RSRC2:TGID_Y_EN: 0
; COMPUTE_PGM_RSRC2:TGID_Z_EN: 0
; COMPUTE_PGM_RSRC2:TIDIG_COMP_CNT: 0
; COMPUTE_PGM_RSRC3_GFX90A:ACCUM_OFFSET: 7
; COMPUTE_PGM_RSRC3_GFX90A:TG_SPLIT: 0
	.section	.text._ZN2at6native12_GLOBAL__N_125multi_tensor_apply_kernelINS1_18TensorListMetadataILi2EEENS1_27BinaryOpScalarTensorFunctorIN3c104HalfELi2ELi1ELi1EEEJSt10multipliesIfEPS7_fEEEvT_T0_DpT1_,"axG",@progbits,_ZN2at6native12_GLOBAL__N_125multi_tensor_apply_kernelINS1_18TensorListMetadataILi2EEENS1_27BinaryOpScalarTensorFunctorIN3c104HalfELi2ELi1ELi1EEEJSt10multipliesIfEPS7_fEEEvT_T0_DpT1_,comdat
	.globl	_ZN2at6native12_GLOBAL__N_125multi_tensor_apply_kernelINS1_18TensorListMetadataILi2EEENS1_27BinaryOpScalarTensorFunctorIN3c104HalfELi2ELi1ELi1EEEJSt10multipliesIfEPS7_fEEEvT_T0_DpT1_ ; -- Begin function _ZN2at6native12_GLOBAL__N_125multi_tensor_apply_kernelINS1_18TensorListMetadataILi2EEENS1_27BinaryOpScalarTensorFunctorIN3c104HalfELi2ELi1ELi1EEEJSt10multipliesIfEPS7_fEEEvT_T0_DpT1_
	.p2align	8
	.type	_ZN2at6native12_GLOBAL__N_125multi_tensor_apply_kernelINS1_18TensorListMetadataILi2EEENS1_27BinaryOpScalarTensorFunctorIN3c104HalfELi2ELi1ELi1EEEJSt10multipliesIfEPS7_fEEEvT_T0_DpT1_,@function
_ZN2at6native12_GLOBAL__N_125multi_tensor_apply_kernelINS1_18TensorListMetadataILi2EEENS1_27BinaryOpScalarTensorFunctorIN3c104HalfELi2ELi1ELi1EEEJSt10multipliesIfEPS7_fEEEvT_T0_DpT1_: ; @_ZN2at6native12_GLOBAL__N_125multi_tensor_apply_kernelINS1_18TensorListMetadataILi2EEENS1_27BinaryOpScalarTensorFunctorIN3c104HalfELi2ELi1ELi1EEEJSt10multipliesIfEPS7_fEEEvT_T0_DpT1_
; %bb.0:
	v_mov_b32_e32 v1, s6
	global_load_ubyte v1, v1, s[4:5] offset:1536
	s_load_dword s22, s[4:5], 0xc58
	s_add_u32 s0, s4, s6
	s_mul_hi_u32 s2, s6, 3
	s_mul_i32 s6, s6, 3
	s_addc_u32 s7, s5, 0
	s_add_u32 s6, s0, s6
	s_addc_u32 s7, s7, s2
	s_load_dword s12, s[6:7], 0x740
	s_mov_b32 s1, 0
	s_mov_b32 s19, s1
	;; [unrolled: 1-line block ×3, first 2 shown]
	s_waitcnt lgkmcnt(0)
	s_ashr_i32 s13, s12, 31
	s_lshl_b64 s[10:11], s[12:13], 17
	s_lshl_b64 s[12:13], s[12:13], 16
	s_waitcnt vmcnt(0)
	v_readfirstlane_b32 s0, v1
	s_lshl_b32 s0, s0, 3
	s_load_dwordx2 s[16:17], s[4:5], s0 offset:0x0
	s_load_dwordx2 s[8:9], s[4:5], 0xc50
	s_load_dwordx2 s[14:15], s[4:5], s0 offset:0x400
	s_load_dwordx2 s[6:7], s[4:5], s0 offset:0x200
	s_waitcnt lgkmcnt(0)
	s_and_b32 s0, s16, 7
	s_and_b32 s18, s14, 3
	;; [unrolled: 1-line block ×3, first 2 shown]
	s_or_b64 s[18:19], s[0:1], s[18:19]
	s_or_b64 s[2:3], s[2:3], s[18:19]
	s_sub_u32 s12, s14, s12
	s_subb_u32 s13, s15, s13
	s_cmp_eq_u64 s[2:3], 0
	s_mov_b64 s[2:3], -1
	s_cbranch_scc0 .LBB46_5
; %bb.1:
	v_mov_b32_e32 v3, 0
	v_lshlrev_b32_e32 v2, 2, v0
	v_cmp_gt_i64_e32 vcc, s[12:13], v[2:3]
	s_and_saveexec_b64 s[14:15], vcc
	s_cbranch_execz .LBB46_4
; %bb.2:
	s_load_dword s0, s[4:5], 0xc6c
	v_lshlrev_b32_e32 v1, 3, v0
	v_mov_b32_e32 v2, s11
	v_add_co_u32_e32 v4, vcc, s10, v1
	s_waitcnt lgkmcnt(0)
	s_and_b32 s0, s0, 0xffff
	v_addc_co_u32_e32 v1, vcc, 0, v2, vcc
	v_add_lshl_u32 v2, v0, s0, 2
	s_lshl_b32 s23, s0, 3
	s_lshl_b32 s24, s0, 2
	s_mov_b64 s[18:19], 0
	v_mov_b32_e32 v5, s17
	v_mov_b32_e32 v8, s7
	s_mov_b64 s[20:21], 0xffff
	v_mov_b32_e32 v9, s1
	v_mov_b32_e32 v10, s1
	v_pk_mov_b32 v[6:7], v[2:3], v[2:3] op_sel:[0,1]
.LBB46_3:                               ; =>This Inner Loop Header: Depth=1
	v_add_co_u32_e32 v12, vcc, s16, v4
	v_addc_co_u32_e32 v13, vcc, v5, v1, vcc
	global_load_ushort v2, v3, s[8:9]
	global_load_dwordx2 v[14:15], v[12:13], off
	v_add_co_u32_e32 v12, vcc, s6, v4
	v_addc_co_u32_e32 v13, vcc, v8, v1, vcc
	v_cmp_le_i64_e32 vcc, s[12:13], v[6:7]
	v_cmp_lt_u64_e64 s[0:1], s[20:21], v[6:7]
	v_add_co_u32_e64 v4, s[2:3], s23, v4
	v_addc_co_u32_e64 v1, s[2:3], v1, v9, s[2:3]
	s_or_b64 s[0:1], vcc, s[0:1]
	v_add_co_u32_e64 v6, s[2:3], s24, v6
	s_and_b64 s[0:1], exec, s[0:1]
	v_addc_co_u32_e64 v7, s[2:3], v7, v10, s[2:3]
	s_or_b64 s[18:19], s[0:1], s[18:19]
	s_waitcnt vmcnt(1)
	v_cvt_f32_f16_e32 v2, v2
	s_waitcnt vmcnt(0)
	v_cvt_f32_f16_e32 v16, v15
	v_cvt_f32_f16_e32 v18, v14
	v_cvt_f32_f16_sdwa v19, v14 dst_sel:DWORD dst_unused:UNUSED_PAD src0_sel:WORD_1
	v_cvt_f32_f16_sdwa v17, v15 dst_sel:DWORD dst_unused:UNUSED_PAD src0_sel:WORD_1
	v_mul_f32_e32 v2, s22, v2
	v_pk_mul_f32 v[14:15], v[2:3], v[18:19] op_sel_hi:[0,1]
	v_pk_mul_f32 v[16:17], v[2:3], v[16:17] op_sel_hi:[0,1]
	v_cvt_f16_f32_e32 v2, v17
	v_cvt_f16_f32_e32 v11, v16
	;; [unrolled: 1-line block ×4, first 2 shown]
	v_pack_b32_f16 v15, v11, v2
	v_pack_b32_f16 v14, v14, v16
	global_store_dwordx2 v[12:13], v[14:15], off
	s_andn2_b64 exec, exec, s[18:19]
	s_cbranch_execnz .LBB46_3
.LBB46_4:
	s_or_b64 exec, exec, s[14:15]
	s_mov_b64 s[2:3], 0
.LBB46_5:
	s_andn2_b64 vcc, exec, s[2:3]
	s_cbranch_vccnz .LBB46_25
; %bb.6:
	v_cmp_lt_i64_e64 s[0:1], s[12:13], 1
	s_and_b64 vcc, exec, s[0:1]
	s_cbranch_vccnz .LBB46_25
; %bb.7:
	s_load_dword s0, s[4:5], 0xc6c
	v_mov_b32_e32 v4, 0x10000
	v_mov_b32_e32 v5, 0
	v_cmp_lt_u64_e32 vcc, s[12:13], v[4:5]
	v_lshlrev_b32_e32 v2, 1, v0
	s_waitcnt lgkmcnt(0)
	s_and_b32 s2, s0, 0xffff
	s_and_b64 s[0:1], vcc, exec
	v_mov_b32_e32 v15, s17
	v_add_co_u32_e32 v4, vcc, s16, v2
	v_addc_co_u32_e32 v1, vcc, 0, v15, vcc
	v_mov_b32_e32 v3, 0
	v_mov_b32_e32 v17, s7
	v_add_co_u32_e32 v6, vcc, s6, v2
	v_addc_co_u32_e32 v5, vcc, 0, v17, vcc
	v_mad_u64_u32 v[10:11], s[0:1], s2, 6, v[2:3]
	v_add_co_u32_e32 v8, vcc, s16, v10
	v_addc_co_u32_e32 v7, vcc, v15, v11, vcc
	v_add_co_u32_e32 v10, vcc, s6, v10
	s_mul_i32 s4, s2, 3
	v_addc_co_u32_e32 v9, vcc, v17, v11, vcc
	s_cselect_b32 s15, s13, 0
	s_cselect_b32 s14, s12, 0x10000
	s_lshl_b32 s21, s2, 2
	v_add_co_u32_e32 v18, vcc, s4, v0
	v_addc_co_u32_e64 v19, s[0:1], 0, 0, vcc
	v_add_co_u32_e32 v12, vcc, s21, v2
	v_addc_co_u32_e64 v13, s[0:1], 0, 0, vcc
	v_add_co_u32_e32 v2, vcc, s16, v12
	v_addc_co_u32_e32 v11, vcc, v15, v13, vcc
	v_add_co_u32_e32 v12, vcc, s6, v12
	s_lshl_b32 s3, s2, 1
	v_addc_co_u32_e32 v13, vcc, v17, v13, vcc
	v_add_co_u32_e32 v20, vcc, s3, v0
	v_addc_co_u32_e64 v21, s[0:1], 0, 0, vcc
	v_add_co_u32_e32 v22, vcc, s2, v0
	v_lshlrev_b32_e32 v16, 1, v22
	v_addc_co_u32_e64 v23, s[0:1], 0, 0, vcc
	v_add_co_u32_e32 v14, vcc, s16, v16
	v_addc_co_u32_e32 v15, vcc, 0, v15, vcc
	v_add_co_u32_e32 v16, vcc, s6, v16
	s_mov_b32 s20, 0
	s_lshl_b32 s23, s2, 3
	v_addc_co_u32_e32 v17, vcc, 0, v17, vcc
	s_mov_b64 s[16:17], 0
	s_branch .LBB46_9
.LBB46_8:                               ;   in Loop: Header=BB46_9 Depth=1
	s_or_b64 exec, exec, s[0:1]
	s_add_u32 s16, s16, s21
	s_addc_u32 s17, s17, 0
	v_pk_mov_b32 v[24:25], s[12:13], s[12:13] op_sel:[0,1]
	v_cmp_ge_i64_e32 vcc, s[16:17], v[24:25]
	v_mov_b32_e32 v24, 0xffff
	v_mov_b32_e32 v25, 0
	v_cmp_gt_u64_e64 s[0:1], s[16:17], v[24:25]
	s_or_b64 s[0:1], vcc, s[0:1]
	v_mov_b32_e32 v24, s20
	v_add_co_u32_e32 v4, vcc, s23, v4
	v_addc_co_u32_e32 v1, vcc, v1, v24, vcc
	v_add_co_u32_e32 v6, vcc, s23, v6
	v_addc_co_u32_e32 v5, vcc, v5, v24, vcc
	;; [unrolled: 2-line block ×8, first 2 shown]
	s_and_b64 vcc, exec, s[0:1]
	s_cbranch_vccnz .LBB46_25
.LBB46_9:                               ; =>This Inner Loop Header: Depth=1
	v_mov_b32_e32 v25, s17
	v_add_co_u32_e32 v24, vcc, s16, v0
	v_addc_co_u32_e32 v25, vcc, 0, v25, vcc
	v_cmp_gt_u64_e32 vcc, s[14:15], v[24:25]
	v_mov_b32_e32 v25, 0
	s_and_saveexec_b64 s[2:3], vcc
	s_cbranch_execz .LBB46_11
; %bb.10:                               ;   in Loop: Header=BB46_9 Depth=1
	v_mov_b32_e32 v25, s11
	v_add_co_u32_e64 v24, s[0:1], s10, v4
	v_addc_co_u32_e64 v25, s[0:1], v1, v25, s[0:1]
	global_load_ushort v25, v[24:25], off
.LBB46_11:                              ;   in Loop: Header=BB46_9 Depth=1
	s_or_b64 exec, exec, s[2:3]
	v_mov_b32_e32 v24, s17
	v_add_co_u32_e64 v26, s[0:1], s16, v22
	v_addc_co_u32_e64 v27, s[0:1], v23, v24, s[0:1]
	v_cmp_gt_u64_e64 s[0:1], s[14:15], v[26:27]
	v_mov_b32_e32 v24, 0
	v_mov_b32_e32 v26, 0
	s_and_saveexec_b64 s[4:5], s[0:1]
	s_cbranch_execz .LBB46_13
; %bb.12:                               ;   in Loop: Header=BB46_9 Depth=1
	v_mov_b32_e32 v27, s11
	v_add_co_u32_e64 v26, s[2:3], s10, v14
	v_addc_co_u32_e64 v27, s[2:3], v15, v27, s[2:3]
	global_load_ushort v26, v[26:27], off
.LBB46_13:                              ;   in Loop: Header=BB46_9 Depth=1
	s_or_b64 exec, exec, s[4:5]
	v_mov_b32_e32 v27, s17
	v_add_co_u32_e64 v28, s[2:3], s16, v20
	v_addc_co_u32_e64 v29, s[2:3], v21, v27, s[2:3]
	v_cmp_gt_u64_e64 s[2:3], s[14:15], v[28:29]
	s_and_saveexec_b64 s[6:7], s[2:3]
	s_cbranch_execz .LBB46_15
; %bb.14:                               ;   in Loop: Header=BB46_9 Depth=1
	v_mov_b32_e32 v24, s11
	v_add_co_u32_e64 v28, s[4:5], s10, v2
	v_addc_co_u32_e64 v29, s[4:5], v11, v24, s[4:5]
	global_load_ushort v24, v[28:29], off
.LBB46_15:                              ;   in Loop: Header=BB46_9 Depth=1
	s_or_b64 exec, exec, s[6:7]
	v_mov_b32_e32 v27, s17
	v_add_co_u32_e64 v28, s[4:5], s16, v18
	v_addc_co_u32_e64 v29, s[4:5], v19, v27, s[4:5]
	v_cmp_gt_u64_e64 s[4:5], s[14:15], v[28:29]
	v_mov_b32_e32 v27, 0
	s_and_saveexec_b64 s[18:19], s[4:5]
	s_cbranch_execz .LBB46_17
; %bb.16:                               ;   in Loop: Header=BB46_9 Depth=1
	v_mov_b32_e32 v27, s11
	v_add_co_u32_e64 v28, s[6:7], s10, v8
	v_addc_co_u32_e64 v29, s[6:7], v7, v27, s[6:7]
	global_load_ushort v27, v[28:29], off
.LBB46_17:                              ;   in Loop: Header=BB46_9 Depth=1
	s_or_b64 exec, exec, s[18:19]
	global_load_ushort v28, v3, s[8:9]
	s_waitcnt vmcnt(0)
	v_cvt_f32_f16_e32 v28, v28
	v_mul_f32_e32 v28, s22, v28
	s_and_saveexec_b64 s[6:7], vcc
	s_cbranch_execnz .LBB46_21
; %bb.18:                               ;   in Loop: Header=BB46_9 Depth=1
	s_or_b64 exec, exec, s[6:7]
	s_and_saveexec_b64 s[6:7], s[0:1]
	s_cbranch_execnz .LBB46_22
.LBB46_19:                              ;   in Loop: Header=BB46_9 Depth=1
	s_or_b64 exec, exec, s[6:7]
	s_and_saveexec_b64 s[0:1], s[2:3]
	s_cbranch_execnz .LBB46_23
.LBB46_20:                              ;   in Loop: Header=BB46_9 Depth=1
	s_or_b64 exec, exec, s[0:1]
	s_and_saveexec_b64 s[0:1], s[4:5]
	s_cbranch_execz .LBB46_8
	s_branch .LBB46_24
.LBB46_21:                              ;   in Loop: Header=BB46_9 Depth=1
	v_mov_b32_e32 v29, s11
	v_add_co_u32_e32 v30, vcc, s10, v6
	v_addc_co_u32_e32 v31, vcc, v5, v29, vcc
	v_fma_mixlo_f16 v25, v28, v25, 0 op_sel_hi:[0,1,0]
	global_store_short v[30:31], v25, off
	s_or_b64 exec, exec, s[6:7]
	s_and_saveexec_b64 s[6:7], s[0:1]
	s_cbranch_execz .LBB46_19
.LBB46_22:                              ;   in Loop: Header=BB46_9 Depth=1
	v_fma_mixlo_f16 v25, v28, v26, 0 op_sel_hi:[0,1,0]
	v_mov_b32_e32 v26, s11
	v_add_co_u32_e32 v30, vcc, s10, v16
	v_addc_co_u32_e32 v31, vcc, v17, v26, vcc
	global_store_short v[30:31], v25, off
	s_or_b64 exec, exec, s[6:7]
	s_and_saveexec_b64 s[0:1], s[2:3]
	s_cbranch_execz .LBB46_20
.LBB46_23:                              ;   in Loop: Header=BB46_9 Depth=1
	v_fma_mixlo_f16 v26, v28, v24, 0 op_sel_hi:[0,1,0]
	v_mov_b32_e32 v25, s11
	v_add_co_u32_e32 v24, vcc, s10, v12
	v_addc_co_u32_e32 v25, vcc, v13, v25, vcc
	global_store_short v[24:25], v26, off
	s_or_b64 exec, exec, s[0:1]
	s_and_saveexec_b64 s[0:1], s[4:5]
	s_cbranch_execz .LBB46_8
.LBB46_24:                              ;   in Loop: Header=BB46_9 Depth=1
	v_mov_b32_e32 v25, s11
	v_add_co_u32_e32 v24, vcc, s10, v10
	v_fma_mixlo_f16 v26, v28, v27, 0 op_sel_hi:[0,1,0]
	v_addc_co_u32_e32 v25, vcc, v9, v25, vcc
	global_store_short v[24:25], v26, off
	s_branch .LBB46_8
.LBB46_25:
	s_endpgm
	.section	.rodata,"a",@progbits
	.p2align	6, 0x0
	.amdhsa_kernel _ZN2at6native12_GLOBAL__N_125multi_tensor_apply_kernelINS1_18TensorListMetadataILi2EEENS1_27BinaryOpScalarTensorFunctorIN3c104HalfELi2ELi1ELi1EEEJSt10multipliesIfEPS7_fEEEvT_T0_DpT1_
		.amdhsa_group_segment_fixed_size 0
		.amdhsa_private_segment_fixed_size 0
		.amdhsa_kernarg_size 3424
		.amdhsa_user_sgpr_count 6
		.amdhsa_user_sgpr_private_segment_buffer 1
		.amdhsa_user_sgpr_dispatch_ptr 0
		.amdhsa_user_sgpr_queue_ptr 0
		.amdhsa_user_sgpr_kernarg_segment_ptr 1
		.amdhsa_user_sgpr_dispatch_id 0
		.amdhsa_user_sgpr_flat_scratch_init 0
		.amdhsa_user_sgpr_kernarg_preload_length 0
		.amdhsa_user_sgpr_kernarg_preload_offset 0
		.amdhsa_user_sgpr_private_segment_size 0
		.amdhsa_uses_dynamic_stack 0
		.amdhsa_system_sgpr_private_segment_wavefront_offset 0
		.amdhsa_system_sgpr_workgroup_id_x 1
		.amdhsa_system_sgpr_workgroup_id_y 0
		.amdhsa_system_sgpr_workgroup_id_z 0
		.amdhsa_system_sgpr_workgroup_info 0
		.amdhsa_system_vgpr_workitem_id 0
		.amdhsa_next_free_vgpr 32
		.amdhsa_next_free_sgpr 25
		.amdhsa_accum_offset 32
		.amdhsa_reserve_vcc 1
		.amdhsa_reserve_flat_scratch 0
		.amdhsa_float_round_mode_32 0
		.amdhsa_float_round_mode_16_64 0
		.amdhsa_float_denorm_mode_32 3
		.amdhsa_float_denorm_mode_16_64 3
		.amdhsa_dx10_clamp 1
		.amdhsa_ieee_mode 1
		.amdhsa_fp16_overflow 0
		.amdhsa_tg_split 0
		.amdhsa_exception_fp_ieee_invalid_op 0
		.amdhsa_exception_fp_denorm_src 0
		.amdhsa_exception_fp_ieee_div_zero 0
		.amdhsa_exception_fp_ieee_overflow 0
		.amdhsa_exception_fp_ieee_underflow 0
		.amdhsa_exception_fp_ieee_inexact 0
		.amdhsa_exception_int_div_zero 0
	.end_amdhsa_kernel
	.section	.text._ZN2at6native12_GLOBAL__N_125multi_tensor_apply_kernelINS1_18TensorListMetadataILi2EEENS1_27BinaryOpScalarTensorFunctorIN3c104HalfELi2ELi1ELi1EEEJSt10multipliesIfEPS7_fEEEvT_T0_DpT1_,"axG",@progbits,_ZN2at6native12_GLOBAL__N_125multi_tensor_apply_kernelINS1_18TensorListMetadataILi2EEENS1_27BinaryOpScalarTensorFunctorIN3c104HalfELi2ELi1ELi1EEEJSt10multipliesIfEPS7_fEEEvT_T0_DpT1_,comdat
.Lfunc_end46:
	.size	_ZN2at6native12_GLOBAL__N_125multi_tensor_apply_kernelINS1_18TensorListMetadataILi2EEENS1_27BinaryOpScalarTensorFunctorIN3c104HalfELi2ELi1ELi1EEEJSt10multipliesIfEPS7_fEEEvT_T0_DpT1_, .Lfunc_end46-_ZN2at6native12_GLOBAL__N_125multi_tensor_apply_kernelINS1_18TensorListMetadataILi2EEENS1_27BinaryOpScalarTensorFunctorIN3c104HalfELi2ELi1ELi1EEEJSt10multipliesIfEPS7_fEEEvT_T0_DpT1_
                                        ; -- End function
	.section	.AMDGPU.csdata,"",@progbits
; Kernel info:
; codeLenInByte = 1344
; NumSgprs: 29
; NumVgprs: 32
; NumAgprs: 0
; TotalNumVgprs: 32
; ScratchSize: 0
; MemoryBound: 0
; FloatMode: 240
; IeeeMode: 1
; LDSByteSize: 0 bytes/workgroup (compile time only)
; SGPRBlocks: 3
; VGPRBlocks: 3
; NumSGPRsForWavesPerEU: 29
; NumVGPRsForWavesPerEU: 32
; AccumOffset: 32
; Occupancy: 8
; WaveLimiterHint : 0
; COMPUTE_PGM_RSRC2:SCRATCH_EN: 0
; COMPUTE_PGM_RSRC2:USER_SGPR: 6
; COMPUTE_PGM_RSRC2:TRAP_HANDLER: 0
; COMPUTE_PGM_RSRC2:TGID_X_EN: 1
; COMPUTE_PGM_RSRC2:TGID_Y_EN: 0
; COMPUTE_PGM_RSRC2:TGID_Z_EN: 0
; COMPUTE_PGM_RSRC2:TIDIG_COMP_CNT: 0
; COMPUTE_PGM_RSRC3_GFX90A:ACCUM_OFFSET: 7
; COMPUTE_PGM_RSRC3_GFX90A:TG_SPLIT: 0
	.section	.text._ZN2at6native12_GLOBAL__N_125multi_tensor_apply_kernelINS1_18TensorListMetadataILi2EEENS1_27BinaryOpScalarTensorFunctorIN3c108BFloat16ELi2ELi1ELi1EEEJSt10multipliesIfEPS7_fEEEvT_T0_DpT1_,"axG",@progbits,_ZN2at6native12_GLOBAL__N_125multi_tensor_apply_kernelINS1_18TensorListMetadataILi2EEENS1_27BinaryOpScalarTensorFunctorIN3c108BFloat16ELi2ELi1ELi1EEEJSt10multipliesIfEPS7_fEEEvT_T0_DpT1_,comdat
	.globl	_ZN2at6native12_GLOBAL__N_125multi_tensor_apply_kernelINS1_18TensorListMetadataILi2EEENS1_27BinaryOpScalarTensorFunctorIN3c108BFloat16ELi2ELi1ELi1EEEJSt10multipliesIfEPS7_fEEEvT_T0_DpT1_ ; -- Begin function _ZN2at6native12_GLOBAL__N_125multi_tensor_apply_kernelINS1_18TensorListMetadataILi2EEENS1_27BinaryOpScalarTensorFunctorIN3c108BFloat16ELi2ELi1ELi1EEEJSt10multipliesIfEPS7_fEEEvT_T0_DpT1_
	.p2align	8
	.type	_ZN2at6native12_GLOBAL__N_125multi_tensor_apply_kernelINS1_18TensorListMetadataILi2EEENS1_27BinaryOpScalarTensorFunctorIN3c108BFloat16ELi2ELi1ELi1EEEJSt10multipliesIfEPS7_fEEEvT_T0_DpT1_,@function
_ZN2at6native12_GLOBAL__N_125multi_tensor_apply_kernelINS1_18TensorListMetadataILi2EEENS1_27BinaryOpScalarTensorFunctorIN3c108BFloat16ELi2ELi1ELi1EEEJSt10multipliesIfEPS7_fEEEvT_T0_DpT1_: ; @_ZN2at6native12_GLOBAL__N_125multi_tensor_apply_kernelINS1_18TensorListMetadataILi2EEENS1_27BinaryOpScalarTensorFunctorIN3c108BFloat16ELi2ELi1ELi1EEEJSt10multipliesIfEPS7_fEEEvT_T0_DpT1_
; %bb.0:
	v_mov_b32_e32 v1, s6
	global_load_ubyte v1, v1, s[4:5] offset:1536
	s_load_dword s22, s[4:5], 0xc58
	s_add_u32 s0, s4, s6
	s_mul_hi_u32 s2, s6, 3
	s_mul_i32 s6, s6, 3
	s_addc_u32 s7, s5, 0
	s_add_u32 s6, s0, s6
	s_addc_u32 s7, s7, s2
	s_load_dword s12, s[6:7], 0x740
	s_mov_b32 s1, 0
	s_mov_b32 s19, s1
	;; [unrolled: 1-line block ×3, first 2 shown]
	s_waitcnt lgkmcnt(0)
	s_ashr_i32 s13, s12, 31
	s_lshl_b64 s[10:11], s[12:13], 17
	s_lshl_b64 s[12:13], s[12:13], 16
	s_waitcnt vmcnt(0)
	v_readfirstlane_b32 s0, v1
	s_lshl_b32 s0, s0, 3
	s_load_dwordx2 s[16:17], s[4:5], s0 offset:0x0
	s_load_dwordx2 s[8:9], s[4:5], 0xc50
	s_load_dwordx2 s[14:15], s[4:5], s0 offset:0x400
	s_load_dwordx2 s[6:7], s[4:5], s0 offset:0x200
	s_waitcnt lgkmcnt(0)
	s_and_b32 s0, s16, 7
	s_and_b32 s18, s14, 3
	;; [unrolled: 1-line block ×3, first 2 shown]
	s_or_b64 s[18:19], s[0:1], s[18:19]
	s_or_b64 s[2:3], s[2:3], s[18:19]
	s_sub_u32 s12, s14, s12
	s_subb_u32 s13, s15, s13
	s_cmp_eq_u64 s[2:3], 0
	s_mov_b64 s[2:3], -1
	s_cbranch_scc0 .LBB47_5
; %bb.1:
	v_mov_b32_e32 v3, 0
	v_lshlrev_b32_e32 v2, 2, v0
	v_cmp_gt_i64_e32 vcc, s[12:13], v[2:3]
	s_and_saveexec_b64 s[14:15], vcc
	s_cbranch_execz .LBB47_4
; %bb.2:
	s_load_dword s0, s[4:5], 0xc6c
	v_lshlrev_b32_e32 v1, 3, v0
	v_mov_b32_e32 v2, s11
	v_add_co_u32_e32 v4, vcc, s10, v1
	s_waitcnt lgkmcnt(0)
	s_and_b32 s0, s0, 0xffff
	v_addc_co_u32_e32 v1, vcc, 0, v2, vcc
	v_add_lshl_u32 v2, v0, s0, 2
	s_lshl_b32 s23, s0, 3
	s_lshl_b32 s24, s0, 2
	s_mov_b64 s[18:19], 0
	v_mov_b32_e32 v5, s17
	s_movk_i32 s25, 0x7fff
	v_mov_b32_e32 v8, s7
	v_mov_b32_e32 v9, 0x7fc00000
	;; [unrolled: 1-line block ×3, first 2 shown]
	s_mov_b64 s[20:21], 0xffff
	v_mov_b32_e32 v11, s1
	v_mov_b32_e32 v12, s1
	v_pk_mov_b32 v[6:7], v[2:3], v[2:3] op_sel:[0,1]
.LBB47_3:                               ; =>This Inner Loop Header: Depth=1
	v_add_co_u32_e32 v14, vcc, s16, v4
	v_addc_co_u32_e32 v15, vcc, v5, v1, vcc
	global_load_ushort v2, v3, s[8:9]
	global_load_dwordx2 v[16:17], v[14:15], off
	v_add_co_u32_e32 v14, vcc, s6, v4
	v_addc_co_u32_e32 v15, vcc, v8, v1, vcc
	v_cmp_le_i64_e32 vcc, s[12:13], v[6:7]
	v_cmp_lt_u64_e64 s[0:1], s[20:21], v[6:7]
	v_add_co_u32_e64 v4, s[2:3], s23, v4
	v_addc_co_u32_e64 v1, s[2:3], v1, v11, s[2:3]
	s_or_b64 s[0:1], vcc, s[0:1]
	v_add_co_u32_e64 v6, s[2:3], s24, v6
	s_and_b64 s[0:1], exec, s[0:1]
	v_addc_co_u32_e64 v7, s[2:3], v7, v12, s[2:3]
	s_or_b64 s[18:19], s[0:1], s[18:19]
	s_waitcnt vmcnt(1)
	v_lshlrev_b32_e32 v2, 16, v2
	s_waitcnt vmcnt(0)
	v_and_b32_e32 v13, 0xffff0000, v16
	v_mul_f32_e32 v2, s22, v2
	v_lshlrev_b32_e32 v18, 16, v16
	v_alignbit_b32 v16, v17, v16, 16
	v_and_b32_e32 v17, 0xffff0000, v17
	v_mul_f32_e32 v18, v2, v18
	v_mul_f32_e32 v13, v2, v13
	v_and_b32_e32 v16, 0xffff0000, v16
	v_mul_f32_e32 v17, v2, v17
	v_bfe_u32 v19, v18, 16, 1
	v_bfe_u32 v20, v13, 16, 1
	v_mul_f32_e32 v2, v2, v16
	v_bfe_u32 v16, v17, 16, 1
	v_add3_u32 v19, v18, v19, s25
	v_add3_u32 v20, v13, v20, s25
	v_bfe_u32 v21, v2, 16, 1
	v_add3_u32 v16, v17, v16, s25
	v_lshrrev_b32_e32 v19, 16, v19
	v_and_b32_e32 v20, 0xffff0000, v20
	v_add3_u32 v21, v2, v21, s25
	v_cmp_o_f32_e32 vcc, v13, v13
	v_cmp_o_f32_e64 s[0:1], v18, v18
	v_and_b32_e32 v16, 0xffff0000, v16
	v_cmp_o_f32_e64 s[2:3], v17, v17
	v_lshrrev_b32_e32 v13, 16, v21
	v_cndmask_b32_e32 v17, v9, v20, vcc
	v_cndmask_b32_e64 v18, v10, v19, s[0:1]
	v_cmp_o_f32_e32 vcc, v2, v2
	v_cndmask_b32_e64 v16, v9, v16, s[2:3]
	v_cndmask_b32_e32 v2, v10, v13, vcc
	v_or_b32_e32 v13, v18, v17
	v_or3_b32 v17, 0, v2, v16
	v_or3_b32 v16, v13, 0, 0
	global_store_dwordx2 v[14:15], v[16:17], off
	s_andn2_b64 exec, exec, s[18:19]
	s_cbranch_execnz .LBB47_3
.LBB47_4:
	s_or_b64 exec, exec, s[14:15]
	s_mov_b64 s[2:3], 0
.LBB47_5:
	s_andn2_b64 vcc, exec, s[2:3]
	s_cbranch_vccnz .LBB47_25
; %bb.6:
	v_cmp_lt_i64_e64 s[0:1], s[12:13], 1
	s_and_b64 vcc, exec, s[0:1]
	s_cbranch_vccnz .LBB47_25
; %bb.7:
	s_load_dword s0, s[4:5], 0xc6c
	v_mov_b32_e32 v4, 0x10000
	v_mov_b32_e32 v5, 0
	v_cmp_lt_u64_e32 vcc, s[12:13], v[4:5]
	v_lshlrev_b32_e32 v2, 1, v0
	s_waitcnt lgkmcnt(0)
	s_and_b32 s2, s0, 0xffff
	s_and_b64 s[0:1], vcc, exec
	v_mov_b32_e32 v15, s17
	v_add_co_u32_e32 v4, vcc, s16, v2
	v_addc_co_u32_e32 v1, vcc, 0, v15, vcc
	v_mov_b32_e32 v3, 0
	v_mov_b32_e32 v17, s7
	v_add_co_u32_e32 v6, vcc, s6, v2
	v_addc_co_u32_e32 v5, vcc, 0, v17, vcc
	v_mad_u64_u32 v[10:11], s[0:1], s2, 6, v[2:3]
	v_add_co_u32_e32 v8, vcc, s16, v10
	v_addc_co_u32_e32 v7, vcc, v15, v11, vcc
	v_add_co_u32_e32 v10, vcc, s6, v10
	s_mul_i32 s4, s2, 3
	v_addc_co_u32_e32 v9, vcc, v17, v11, vcc
	s_cselect_b32 s15, s13, 0
	s_cselect_b32 s14, s12, 0x10000
	s_lshl_b32 s21, s2, 2
	v_add_co_u32_e32 v18, vcc, s4, v0
	v_addc_co_u32_e64 v19, s[0:1], 0, 0, vcc
	v_add_co_u32_e32 v12, vcc, s21, v2
	v_addc_co_u32_e64 v13, s[0:1], 0, 0, vcc
	v_add_co_u32_e32 v2, vcc, s16, v12
	v_addc_co_u32_e32 v11, vcc, v15, v13, vcc
	v_add_co_u32_e32 v12, vcc, s6, v12
	s_lshl_b32 s3, s2, 1
	v_addc_co_u32_e32 v13, vcc, v17, v13, vcc
	v_add_co_u32_e32 v20, vcc, s3, v0
	v_addc_co_u32_e64 v21, s[0:1], 0, 0, vcc
	v_add_co_u32_e32 v22, vcc, s2, v0
	v_lshlrev_b32_e32 v16, 1, v22
	v_addc_co_u32_e64 v23, s[0:1], 0, 0, vcc
	v_add_co_u32_e32 v14, vcc, s16, v16
	v_addc_co_u32_e32 v15, vcc, 0, v15, vcc
	v_add_co_u32_e32 v16, vcc, s6, v16
	s_mov_b32 s20, 0
	s_lshl_b32 s23, s2, 3
	v_addc_co_u32_e32 v17, vcc, 0, v17, vcc
	s_mov_b64 s[16:17], 0
	s_movk_i32 s24, 0x7fff
	v_mov_b32_e32 v24, 0x7fc0
	s_branch .LBB47_9
.LBB47_8:                               ;   in Loop: Header=BB47_9 Depth=1
	s_or_b64 exec, exec, s[0:1]
	s_add_u32 s16, s16, s21
	s_addc_u32 s17, s17, 0
	v_pk_mov_b32 v[26:27], s[12:13], s[12:13] op_sel:[0,1]
	v_cmp_ge_i64_e32 vcc, s[16:17], v[26:27]
	v_mov_b32_e32 v26, 0xffff
	v_mov_b32_e32 v27, 0
	v_cmp_gt_u64_e64 s[0:1], s[16:17], v[26:27]
	s_or_b64 s[0:1], vcc, s[0:1]
	v_mov_b32_e32 v25, s20
	v_add_co_u32_e32 v4, vcc, s23, v4
	v_addc_co_u32_e32 v1, vcc, v1, v25, vcc
	v_add_co_u32_e32 v6, vcc, s23, v6
	v_addc_co_u32_e32 v5, vcc, v5, v25, vcc
	;; [unrolled: 2-line block ×8, first 2 shown]
	s_and_b64 vcc, exec, s[0:1]
	s_cbranch_vccnz .LBB47_25
.LBB47_9:                               ; =>This Inner Loop Header: Depth=1
	v_mov_b32_e32 v25, s17
	v_add_co_u32_e32 v26, vcc, s16, v0
	v_addc_co_u32_e32 v27, vcc, 0, v25, vcc
	v_cmp_gt_u64_e32 vcc, s[14:15], v[26:27]
	v_mov_b32_e32 v26, 0
	s_and_saveexec_b64 s[2:3], vcc
	s_cbranch_execz .LBB47_11
; %bb.10:                               ;   in Loop: Header=BB47_9 Depth=1
	v_mov_b32_e32 v25, s11
	v_add_co_u32_e64 v26, s[0:1], s10, v4
	v_addc_co_u32_e64 v27, s[0:1], v1, v25, s[0:1]
	global_load_ushort v26, v[26:27], off
.LBB47_11:                              ;   in Loop: Header=BB47_9 Depth=1
	s_or_b64 exec, exec, s[2:3]
	v_mov_b32_e32 v25, s17
	v_add_co_u32_e64 v28, s[0:1], s16, v22
	v_addc_co_u32_e64 v29, s[0:1], v23, v25, s[0:1]
	v_cmp_gt_u64_e64 s[0:1], s[14:15], v[28:29]
	v_mov_b32_e32 v25, 0
	v_mov_b32_e32 v27, 0
	s_and_saveexec_b64 s[4:5], s[0:1]
	s_cbranch_execz .LBB47_13
; %bb.12:                               ;   in Loop: Header=BB47_9 Depth=1
	v_mov_b32_e32 v27, s11
	v_add_co_u32_e64 v28, s[2:3], s10, v14
	v_addc_co_u32_e64 v29, s[2:3], v15, v27, s[2:3]
	global_load_ushort v27, v[28:29], off
.LBB47_13:                              ;   in Loop: Header=BB47_9 Depth=1
	s_or_b64 exec, exec, s[4:5]
	v_mov_b32_e32 v29, s17
	v_add_co_u32_e64 v28, s[2:3], s16, v20
	v_addc_co_u32_e64 v29, s[2:3], v21, v29, s[2:3]
	v_cmp_gt_u64_e64 s[2:3], s[14:15], v[28:29]
	s_and_saveexec_b64 s[6:7], s[2:3]
	s_cbranch_execz .LBB47_15
; %bb.14:                               ;   in Loop: Header=BB47_9 Depth=1
	v_mov_b32_e32 v25, s11
	v_add_co_u32_e64 v28, s[4:5], s10, v2
	v_addc_co_u32_e64 v29, s[4:5], v11, v25, s[4:5]
	global_load_ushort v25, v[28:29], off
.LBB47_15:                              ;   in Loop: Header=BB47_9 Depth=1
	s_or_b64 exec, exec, s[6:7]
	v_mov_b32_e32 v29, s17
	v_add_co_u32_e64 v28, s[4:5], s16, v18
	v_addc_co_u32_e64 v29, s[4:5], v19, v29, s[4:5]
	v_cmp_gt_u64_e64 s[4:5], s[14:15], v[28:29]
	v_mov_b32_e32 v28, 0
	s_and_saveexec_b64 s[18:19], s[4:5]
	s_cbranch_execz .LBB47_17
; %bb.16:                               ;   in Loop: Header=BB47_9 Depth=1
	v_mov_b32_e32 v29, s11
	v_add_co_u32_e64 v28, s[6:7], s10, v8
	v_addc_co_u32_e64 v29, s[6:7], v7, v29, s[6:7]
	global_load_ushort v28, v[28:29], off
.LBB47_17:                              ;   in Loop: Header=BB47_9 Depth=1
	s_or_b64 exec, exec, s[18:19]
	global_load_ushort v29, v3, s[8:9]
	s_waitcnt vmcnt(0)
	v_lshlrev_b32_e32 v29, 16, v29
	v_mul_f32_e32 v29, s22, v29
	s_and_saveexec_b64 s[6:7], vcc
	s_cbranch_execnz .LBB47_21
; %bb.18:                               ;   in Loop: Header=BB47_9 Depth=1
	s_or_b64 exec, exec, s[6:7]
	s_and_saveexec_b64 s[6:7], s[0:1]
	s_cbranch_execnz .LBB47_22
.LBB47_19:                              ;   in Loop: Header=BB47_9 Depth=1
	s_or_b64 exec, exec, s[6:7]
	s_and_saveexec_b64 s[0:1], s[2:3]
	s_cbranch_execnz .LBB47_23
.LBB47_20:                              ;   in Loop: Header=BB47_9 Depth=1
	s_or_b64 exec, exec, s[0:1]
	s_and_saveexec_b64 s[0:1], s[4:5]
	s_cbranch_execz .LBB47_8
	s_branch .LBB47_24
.LBB47_21:                              ;   in Loop: Header=BB47_9 Depth=1
	v_lshlrev_b32_e32 v26, 16, v26
	v_mul_f32_e32 v26, v29, v26
	v_bfe_u32 v30, v26, 16, 1
	v_add3_u32 v30, v26, v30, s24
	v_lshrrev_b32_e32 v30, 16, v30
	v_cmp_o_f32_e32 vcc, v26, v26
	v_cndmask_b32_e32 v26, v24, v30, vcc
	v_mov_b32_e32 v31, s11
	v_add_co_u32_e32 v30, vcc, s10, v6
	v_addc_co_u32_e32 v31, vcc, v5, v31, vcc
	global_store_short v[30:31], v26, off
	s_or_b64 exec, exec, s[6:7]
	s_and_saveexec_b64 s[6:7], s[0:1]
	s_cbranch_execz .LBB47_19
.LBB47_22:                              ;   in Loop: Header=BB47_9 Depth=1
	v_lshlrev_b32_e32 v26, 16, v27
	v_mul_f32_e32 v26, v29, v26
	v_bfe_u32 v27, v26, 16, 1
	v_add3_u32 v27, v26, v27, s24
	v_lshrrev_b32_e32 v27, 16, v27
	v_cmp_o_f32_e32 vcc, v26, v26
	v_cndmask_b32_e32 v30, v24, v27, vcc
	v_mov_b32_e32 v27, s11
	v_add_co_u32_e32 v26, vcc, s10, v16
	v_addc_co_u32_e32 v27, vcc, v17, v27, vcc
	global_store_short v[26:27], v30, off
	s_or_b64 exec, exec, s[6:7]
	s_and_saveexec_b64 s[0:1], s[2:3]
	s_cbranch_execz .LBB47_20
.LBB47_23:                              ;   in Loop: Header=BB47_9 Depth=1
	v_lshlrev_b32_e32 v25, 16, v25
	v_mul_f32_e32 v25, v29, v25
	v_bfe_u32 v26, v25, 16, 1
	v_add3_u32 v26, v25, v26, s24
	v_lshrrev_b32_e32 v26, 16, v26
	v_cmp_o_f32_e32 vcc, v25, v25
	v_cndmask_b32_e32 v25, v24, v26, vcc
	v_mov_b32_e32 v27, s11
	v_add_co_u32_e32 v26, vcc, s10, v12
	v_addc_co_u32_e32 v27, vcc, v13, v27, vcc
	global_store_short v[26:27], v25, off
	s_or_b64 exec, exec, s[0:1]
	s_and_saveexec_b64 s[0:1], s[4:5]
	s_cbranch_execz .LBB47_8
.LBB47_24:                              ;   in Loop: Header=BB47_9 Depth=1
	v_lshlrev_b32_e32 v25, 16, v28
	v_mul_f32_e32 v25, v29, v25
	v_bfe_u32 v26, v25, 16, 1
	v_add3_u32 v26, v25, v26, s24
	v_lshrrev_b32_e32 v26, 16, v26
	v_cmp_o_f32_e32 vcc, v25, v25
	v_cndmask_b32_e32 v25, v24, v26, vcc
	v_mov_b32_e32 v27, s11
	v_add_co_u32_e32 v26, vcc, s10, v10
	v_addc_co_u32_e32 v27, vcc, v9, v27, vcc
	global_store_short v[26:27], v25, off
	s_branch .LBB47_8
.LBB47_25:
	s_endpgm
	.section	.rodata,"a",@progbits
	.p2align	6, 0x0
	.amdhsa_kernel _ZN2at6native12_GLOBAL__N_125multi_tensor_apply_kernelINS1_18TensorListMetadataILi2EEENS1_27BinaryOpScalarTensorFunctorIN3c108BFloat16ELi2ELi1ELi1EEEJSt10multipliesIfEPS7_fEEEvT_T0_DpT1_
		.amdhsa_group_segment_fixed_size 0
		.amdhsa_private_segment_fixed_size 0
		.amdhsa_kernarg_size 3424
		.amdhsa_user_sgpr_count 6
		.amdhsa_user_sgpr_private_segment_buffer 1
		.amdhsa_user_sgpr_dispatch_ptr 0
		.amdhsa_user_sgpr_queue_ptr 0
		.amdhsa_user_sgpr_kernarg_segment_ptr 1
		.amdhsa_user_sgpr_dispatch_id 0
		.amdhsa_user_sgpr_flat_scratch_init 0
		.amdhsa_user_sgpr_kernarg_preload_length 0
		.amdhsa_user_sgpr_kernarg_preload_offset 0
		.amdhsa_user_sgpr_private_segment_size 0
		.amdhsa_uses_dynamic_stack 0
		.amdhsa_system_sgpr_private_segment_wavefront_offset 0
		.amdhsa_system_sgpr_workgroup_id_x 1
		.amdhsa_system_sgpr_workgroup_id_y 0
		.amdhsa_system_sgpr_workgroup_id_z 0
		.amdhsa_system_sgpr_workgroup_info 0
		.amdhsa_system_vgpr_workitem_id 0
		.amdhsa_next_free_vgpr 32
		.amdhsa_next_free_sgpr 26
		.amdhsa_accum_offset 32
		.amdhsa_reserve_vcc 1
		.amdhsa_reserve_flat_scratch 0
		.amdhsa_float_round_mode_32 0
		.amdhsa_float_round_mode_16_64 0
		.amdhsa_float_denorm_mode_32 3
		.amdhsa_float_denorm_mode_16_64 3
		.amdhsa_dx10_clamp 1
		.amdhsa_ieee_mode 1
		.amdhsa_fp16_overflow 0
		.amdhsa_tg_split 0
		.amdhsa_exception_fp_ieee_invalid_op 0
		.amdhsa_exception_fp_denorm_src 0
		.amdhsa_exception_fp_ieee_div_zero 0
		.amdhsa_exception_fp_ieee_overflow 0
		.amdhsa_exception_fp_ieee_underflow 0
		.amdhsa_exception_fp_ieee_inexact 0
		.amdhsa_exception_int_div_zero 0
	.end_amdhsa_kernel
	.section	.text._ZN2at6native12_GLOBAL__N_125multi_tensor_apply_kernelINS1_18TensorListMetadataILi2EEENS1_27BinaryOpScalarTensorFunctorIN3c108BFloat16ELi2ELi1ELi1EEEJSt10multipliesIfEPS7_fEEEvT_T0_DpT1_,"axG",@progbits,_ZN2at6native12_GLOBAL__N_125multi_tensor_apply_kernelINS1_18TensorListMetadataILi2EEENS1_27BinaryOpScalarTensorFunctorIN3c108BFloat16ELi2ELi1ELi1EEEJSt10multipliesIfEPS7_fEEEvT_T0_DpT1_,comdat
.Lfunc_end47:
	.size	_ZN2at6native12_GLOBAL__N_125multi_tensor_apply_kernelINS1_18TensorListMetadataILi2EEENS1_27BinaryOpScalarTensorFunctorIN3c108BFloat16ELi2ELi1ELi1EEEJSt10multipliesIfEPS7_fEEEvT_T0_DpT1_, .Lfunc_end47-_ZN2at6native12_GLOBAL__N_125multi_tensor_apply_kernelINS1_18TensorListMetadataILi2EEENS1_27BinaryOpScalarTensorFunctorIN3c108BFloat16ELi2ELi1ELi1EEEJSt10multipliesIfEPS7_fEEEvT_T0_DpT1_
                                        ; -- End function
	.section	.AMDGPU.csdata,"",@progbits
; Kernel info:
; codeLenInByte = 1624
; NumSgprs: 30
; NumVgprs: 32
; NumAgprs: 0
; TotalNumVgprs: 32
; ScratchSize: 0
; MemoryBound: 0
; FloatMode: 240
; IeeeMode: 1
; LDSByteSize: 0 bytes/workgroup (compile time only)
; SGPRBlocks: 3
; VGPRBlocks: 3
; NumSGPRsForWavesPerEU: 30
; NumVGPRsForWavesPerEU: 32
; AccumOffset: 32
; Occupancy: 8
; WaveLimiterHint : 0
; COMPUTE_PGM_RSRC2:SCRATCH_EN: 0
; COMPUTE_PGM_RSRC2:USER_SGPR: 6
; COMPUTE_PGM_RSRC2:TRAP_HANDLER: 0
; COMPUTE_PGM_RSRC2:TGID_X_EN: 1
; COMPUTE_PGM_RSRC2:TGID_Y_EN: 0
; COMPUTE_PGM_RSRC2:TGID_Z_EN: 0
; COMPUTE_PGM_RSRC2:TIDIG_COMP_CNT: 0
; COMPUTE_PGM_RSRC3_GFX90A:ACCUM_OFFSET: 7
; COMPUTE_PGM_RSRC3_GFX90A:TG_SPLIT: 0
	.section	.text._ZN2at6native12_GLOBAL__N_125multi_tensor_apply_kernelINS1_18TensorListMetadataILi1EEENS1_27BinaryOpScalarTensorFunctorIhLi1ELi1ELi0EEEJSt7dividesIhEPhhEEEvT_T0_DpT1_,"axG",@progbits,_ZN2at6native12_GLOBAL__N_125multi_tensor_apply_kernelINS1_18TensorListMetadataILi1EEENS1_27BinaryOpScalarTensorFunctorIhLi1ELi1ELi0EEEJSt7dividesIhEPhhEEEvT_T0_DpT1_,comdat
	.globl	_ZN2at6native12_GLOBAL__N_125multi_tensor_apply_kernelINS1_18TensorListMetadataILi1EEENS1_27BinaryOpScalarTensorFunctorIhLi1ELi1ELi0EEEJSt7dividesIhEPhhEEEvT_T0_DpT1_ ; -- Begin function _ZN2at6native12_GLOBAL__N_125multi_tensor_apply_kernelINS1_18TensorListMetadataILi1EEENS1_27BinaryOpScalarTensorFunctorIhLi1ELi1ELi0EEEJSt7dividesIhEPhhEEEvT_T0_DpT1_
	.p2align	8
	.type	_ZN2at6native12_GLOBAL__N_125multi_tensor_apply_kernelINS1_18TensorListMetadataILi1EEENS1_27BinaryOpScalarTensorFunctorIhLi1ELi1ELi0EEEJSt7dividesIhEPhhEEEvT_T0_DpT1_,@function
_ZN2at6native12_GLOBAL__N_125multi_tensor_apply_kernelINS1_18TensorListMetadataILi1EEENS1_27BinaryOpScalarTensorFunctorIhLi1ELi1ELi0EEEJSt7dividesIhEPhhEEEvT_T0_DpT1_: ; @_ZN2at6native12_GLOBAL__N_125multi_tensor_apply_kernelINS1_18TensorListMetadataILi1EEENS1_27BinaryOpScalarTensorFunctorIhLi1ELi1ELi0EEEJSt7dividesIhEPhhEEEvT_T0_DpT1_
; %bb.0:
	v_mov_b32_e32 v1, s6
	global_load_ubyte v1, v1, s[4:5] offset:1760
	s_add_u32 s0, s4, s6
	s_mul_hi_u32 s1, s6, 3
	s_mul_i32 s6, s6, 3
	s_addc_u32 s2, s5, 0
	s_add_u32 s0, s0, s6
	s_addc_u32 s1, s2, s1
	s_load_dword s2, s[0:1], 0x820
	s_load_dword s21, s[4:5], 0xd38
	s_waitcnt vmcnt(0)
	v_readfirstlane_b32 s0, v1
	s_lshl_b32 s3, s0, 3
	s_load_dwordx2 s[0:1], s[4:5], s3 offset:0x0
	s_load_dwordx2 s[10:11], s[4:5], 0xd30
	s_load_dwordx2 s[6:7], s[4:5], s3 offset:0x370
	s_waitcnt lgkmcnt(0)
	s_ashr_i32 s3, s2, 31
	s_lshl_b64 s[2:3], s[2:3], 16
	s_add_u32 s20, s0, s2
	s_addc_u32 s22, s1, s3
	s_sub_u32 s12, s6, s2
	s_subb_u32 s13, s7, s3
	s_or_b32 s6, s6, s20
	s_and_b32 s6, s6, 3
	s_cmp_eq_u32 s6, 0
	s_cbranch_scc1 .LBB48_21
; %bb.1:
	v_cmp_lt_i64_e64 s[6:7], s[12:13], 1
	s_and_b64 vcc, exec, s[6:7]
	s_cbranch_vccnz .LBB48_20
; %bb.2:
	s_load_dword s6, s[4:5], 0xd4c
	v_mov_b32_e32 v2, 0x10000
	v_mov_b32_e32 v3, 0
	v_cmp_lt_u64_e32 vcc, s[12:13], v[2:3]
	v_mov_b32_e32 v2, s3
	s_waitcnt lgkmcnt(0)
	s_and_b32 s8, s6, 0xffff
	s_and_b64 s[6:7], vcc, exec
	s_cselect_b32 s15, s13, 0
	s_cselect_b32 s14, s12, 0x10000
	s_lshl_b32 s9, s8, 1
	s_mul_i32 s6, s8, 3
	s_lshl_b32 s23, s8, 2
	s_and_b32 s24, s21, 0xff
	s_add_u32 s7, s2, s6
	v_add_co_u32_e32 v3, vcc, s2, v0
	s_addc_u32 s16, s3, 0
	v_addc_co_u32_e32 v2, vcc, 0, v2, vcc
	s_add_u32 s7, s0, s7
	v_mov_b32_e32 v5, s1
	v_add_co_u32_e32 v4, vcc, s0, v3
	s_addc_u32 s16, s1, s16
	v_addc_co_u32_e32 v5, vcc, v5, v2, vcc
	s_add_u32 s2, s2, s9
	v_mov_b32_e32 v7, s16
	v_add_co_u32_e32 v6, vcc, s7, v0
	s_addc_u32 s3, s3, 0
	v_addc_co_u32_e32 v7, vcc, 0, v7, vcc
	s_add_u32 s2, s0, s2
	v_add_co_u32_e32 v8, vcc, s6, v0
	s_addc_u32 s3, s1, s3
	v_addc_co_u32_e64 v9, s[6:7], 0, 0, vcc
	v_mov_b32_e32 v11, s3
	v_add_co_u32_e32 v10, vcc, s2, v0
	v_addc_co_u32_e32 v11, vcc, 0, v11, vcc
	s_add_u32 s0, s0, s8
	v_add_co_u32_e32 v12, vcc, s9, v0
	s_addc_u32 s1, s1, 0
	v_addc_co_u32_e64 v13, s[2:3], 0, 0, vcc
	v_mov_b32_e32 v15, s1
	v_add_co_u32_e32 v14, vcc, s0, v3
	v_addc_co_u32_e32 v15, vcc, v15, v2, vcc
	v_add_co_u32_e32 v16, vcc, s8, v0
	v_mov_b32_e32 v1, 0
	v_addc_co_u32_e64 v17, s[0:1], 0, 0, vcc
	s_mov_b64 s[16:17], 0
	v_pk_mov_b32 v[2:3], s[12:13], s[12:13] op_sel:[0,1]
	s_branch .LBB48_4
.LBB48_3:                               ;   in Loop: Header=BB48_4 Depth=1
	s_or_b64 exec, exec, s[0:1]
	s_add_u32 s16, s16, s23
	v_mov_b32_e32 v18, 0x10000
	s_addc_u32 s17, s17, 0
	v_mov_b32_e32 v19, 0
	v_cmp_lt_i64_e32 vcc, s[16:17], v[2:3]
	v_cmp_lt_u64_e64 s[0:1], s[16:17], v[18:19]
	s_and_b64 s[0:1], vcc, s[0:1]
	s_and_b64 vcc, exec, s[0:1]
	s_cbranch_vccz .LBB48_20
.LBB48_4:                               ; =>This Inner Loop Header: Depth=1
	v_mov_b32_e32 v19, s17
	v_add_co_u32_e32 v18, vcc, s16, v0
	v_addc_co_u32_e32 v19, vcc, 0, v19, vcc
	v_cmp_gt_u64_e32 vcc, s[14:15], v[18:19]
	v_mov_b32_e32 v19, 0
	s_and_saveexec_b64 s[2:3], vcc
	s_cbranch_execz .LBB48_6
; %bb.5:                                ;   in Loop: Header=BB48_4 Depth=1
	v_mov_b32_e32 v19, s17
	v_add_co_u32_e64 v18, s[0:1], s16, v4
	v_addc_co_u32_e64 v19, s[0:1], v5, v19, s[0:1]
	global_load_ubyte v19, v[18:19], off
.LBB48_6:                               ;   in Loop: Header=BB48_4 Depth=1
	s_or_b64 exec, exec, s[2:3]
	v_mov_b32_e32 v18, s17
	v_add_co_u32_e64 v20, s[0:1], s16, v16
	v_addc_co_u32_e64 v21, s[0:1], v17, v18, s[0:1]
	v_cmp_gt_u64_e64 s[0:1], s[14:15], v[20:21]
	v_mov_b32_e32 v18, 0
	v_mov_b32_e32 v20, 0
	s_and_saveexec_b64 s[6:7], s[0:1]
	s_cbranch_execz .LBB48_8
; %bb.7:                                ;   in Loop: Header=BB48_4 Depth=1
	v_mov_b32_e32 v21, s17
	v_add_co_u32_e64 v20, s[2:3], s16, v14
	v_addc_co_u32_e64 v21, s[2:3], v15, v21, s[2:3]
	global_load_ubyte v20, v[20:21], off
.LBB48_8:                               ;   in Loop: Header=BB48_4 Depth=1
	s_or_b64 exec, exec, s[6:7]
	v_mov_b32_e32 v21, s17
	v_add_co_u32_e64 v22, s[2:3], s16, v12
	v_addc_co_u32_e64 v23, s[2:3], v13, v21, s[2:3]
	v_cmp_gt_u64_e64 s[2:3], s[14:15], v[22:23]
	s_and_saveexec_b64 s[8:9], s[2:3]
	s_cbranch_execz .LBB48_10
; %bb.9:                                ;   in Loop: Header=BB48_4 Depth=1
	v_mov_b32_e32 v18, s17
	v_add_co_u32_e64 v22, s[6:7], s16, v10
	v_addc_co_u32_e64 v23, s[6:7], v11, v18, s[6:7]
	global_load_ubyte v18, v[22:23], off
.LBB48_10:                              ;   in Loop: Header=BB48_4 Depth=1
	s_or_b64 exec, exec, s[8:9]
	v_mov_b32_e32 v21, s17
	v_add_co_u32_e64 v22, s[6:7], s16, v8
	v_addc_co_u32_e64 v23, s[6:7], v9, v21, s[6:7]
	v_cmp_gt_u64_e64 s[6:7], s[14:15], v[22:23]
	v_mov_b32_e32 v21, 0
	s_and_saveexec_b64 s[18:19], s[6:7]
	s_cbranch_execz .LBB48_12
; %bb.11:                               ;   in Loop: Header=BB48_4 Depth=1
	v_mov_b32_e32 v21, s17
	v_add_co_u32_e64 v22, s[8:9], s16, v6
	v_addc_co_u32_e64 v23, s[8:9], v7, v21, s[8:9]
	global_load_ubyte v21, v[22:23], off
.LBB48_12:                              ;   in Loop: Header=BB48_4 Depth=1
	s_or_b64 exec, exec, s[18:19]
	global_load_ubyte v22, v1, s[10:11]
	s_waitcnt vmcnt(0)
	v_mul_lo_u32 v22, v22, s24
	v_cvt_f32_ubyte0_e32 v22, v22
	v_rcp_iflag_f32_e32 v23, v22
	s_and_saveexec_b64 s[8:9], vcc
	s_cbranch_execnz .LBB48_16
; %bb.13:                               ;   in Loop: Header=BB48_4 Depth=1
	s_or_b64 exec, exec, s[8:9]
	s_and_saveexec_b64 s[8:9], s[0:1]
	s_cbranch_execnz .LBB48_17
.LBB48_14:                              ;   in Loop: Header=BB48_4 Depth=1
	s_or_b64 exec, exec, s[8:9]
	s_and_saveexec_b64 s[0:1], s[2:3]
	s_cbranch_execnz .LBB48_18
.LBB48_15:                              ;   in Loop: Header=BB48_4 Depth=1
	s_or_b64 exec, exec, s[0:1]
	s_and_saveexec_b64 s[0:1], s[6:7]
	s_cbranch_execz .LBB48_3
	s_branch .LBB48_19
.LBB48_16:                              ;   in Loop: Header=BB48_4 Depth=1
	v_cvt_f32_ubyte0_e32 v19, v19
	v_mul_f32_e32 v26, v19, v23
	v_trunc_f32_e32 v26, v26
	v_cvt_u32_f32_e32 v27, v26
	v_mov_b32_e32 v25, s17
	v_add_co_u32_e32 v24, vcc, s16, v4
	v_addc_co_u32_e32 v25, vcc, v5, v25, vcc
	v_mad_f32 v19, -v26, v22, v19
	v_cmp_ge_f32_e64 vcc, |v19|, v22
	v_addc_co_u32_e32 v19, vcc, 0, v27, vcc
	global_store_byte v[24:25], v19, off
	s_or_b64 exec, exec, s[8:9]
	s_and_saveexec_b64 s[8:9], s[0:1]
	s_cbranch_execz .LBB48_14
.LBB48_17:                              ;   in Loop: Header=BB48_4 Depth=1
	v_cvt_f32_ubyte0_e32 v19, v20
	v_mul_f32_e32 v20, v19, v23
	v_trunc_f32_e32 v20, v20
	v_cvt_u32_f32_e32 v24, v20
	v_mad_f32 v19, -v20, v22, v19
	v_cmp_ge_f32_e64 vcc, |v19|, v22
	v_mov_b32_e32 v20, s17
	v_addc_co_u32_e32 v19, vcc, 0, v24, vcc
	v_add_co_u32_e32 v24, vcc, s16, v14
	v_addc_co_u32_e32 v25, vcc, v15, v20, vcc
	global_store_byte v[24:25], v19, off
	s_or_b64 exec, exec, s[8:9]
	s_and_saveexec_b64 s[0:1], s[2:3]
	s_cbranch_execz .LBB48_15
.LBB48_18:                              ;   in Loop: Header=BB48_4 Depth=1
	v_cvt_f32_ubyte0_e32 v18, v18
	v_mul_f32_e32 v19, v18, v23
	v_trunc_f32_e32 v19, v19
	v_cvt_u32_f32_e32 v20, v19
	v_mad_f32 v18, -v19, v22, v18
	v_cmp_ge_f32_e64 vcc, |v18|, v22
	v_mov_b32_e32 v19, s17
	v_addc_co_u32_e32 v20, vcc, 0, v20, vcc
	v_add_co_u32_e32 v18, vcc, s16, v10
	v_addc_co_u32_e32 v19, vcc, v11, v19, vcc
	global_store_byte v[18:19], v20, off
	s_or_b64 exec, exec, s[0:1]
	s_and_saveexec_b64 s[0:1], s[6:7]
	s_cbranch_execz .LBB48_3
.LBB48_19:                              ;   in Loop: Header=BB48_4 Depth=1
	v_cvt_f32_ubyte0_e32 v18, v21
	v_mul_f32_e32 v19, v18, v23
	v_trunc_f32_e32 v19, v19
	v_cvt_u32_f32_e32 v20, v19
	v_mad_f32 v18, -v19, v22, v18
	v_cmp_ge_f32_e64 vcc, |v18|, v22
	v_mov_b32_e32 v19, s17
	v_addc_co_u32_e32 v20, vcc, 0, v20, vcc
	v_add_co_u32_e32 v18, vcc, s16, v6
	v_addc_co_u32_e32 v19, vcc, v7, v19, vcc
	global_store_byte v[18:19], v20, off
	s_branch .LBB48_3
.LBB48_20:
	s_cbranch_execz .LBB48_22
	s_branch .LBB48_25
.LBB48_21:
.LBB48_22:
	v_lshlrev_b32_e32 v0, 2, v0
	v_mov_b32_e32 v1, 0
	v_cmp_gt_i64_e32 vcc, s[12:13], v[0:1]
	s_and_saveexec_b64 s[0:1], vcc
	s_cbranch_execz .LBB48_25
; %bb.23:
	s_load_dword s0, s[4:5], 0xd4c
	s_mov_b32 s1, 0
	s_and_b32 s14, s21, 0xff
	s_mov_b64 s[6:7], 0
	v_mov_b32_e32 v4, s22
	s_waitcnt lgkmcnt(0)
	s_and_b32 s0, s0, 0xffff
	s_lshl_b32 s15, s0, 2
	v_mov_b32_e32 v5, s1
	s_mov_b64 s[8:9], 0xffff
	v_mov_b32_e32 v6, 8
	v_pk_mov_b32 v[2:3], v[0:1], v[0:1] op_sel:[0,1]
.LBB48_24:                              ; =>This Inner Loop Header: Depth=1
	v_add_co_u32_e32 v8, vcc, s20, v2
	v_addc_co_u32_e32 v9, vcc, v4, v3, vcc
	global_load_ubyte v0, v1, s[10:11]
	global_load_dword v7, v[8:9], off
	v_add_co_u32_e32 v2, vcc, s15, v2
	v_addc_co_u32_e32 v3, vcc, v5, v3, vcc
	v_cmp_le_i64_e32 vcc, s[12:13], v[2:3]
	v_cmp_lt_u64_e64 s[0:1], s[8:9], v[2:3]
	s_or_b64 s[0:1], vcc, s[0:1]
	s_and_b64 s[0:1], exec, s[0:1]
	s_or_b64 s[6:7], s[0:1], s[6:7]
	s_waitcnt vmcnt(1)
	v_mul_lo_u32 v0, v0, s14
	v_cvt_f32_ubyte0_e32 v0, v0
	v_rcp_iflag_f32_e32 v13, v0
	s_waitcnt vmcnt(0)
	v_cvt_f32_ubyte1_e32 v11, v7
	v_cvt_f32_ubyte2_e32 v12, v7
	v_cvt_f32_ubyte0_e32 v10, v7
	v_mul_f32_e32 v15, v11, v13
	v_mul_f32_e32 v16, v12, v13
	v_cvt_f32_ubyte3_e32 v7, v7
	v_trunc_f32_e32 v15, v15
	v_trunc_f32_e32 v16, v16
	v_mul_f32_e32 v14, v10, v13
	v_mul_f32_e32 v13, v7, v13
	v_mad_f32 v11, -v15, v0, v11
	v_cvt_u32_f32_e32 v15, v15
	v_mad_f32 v12, -v16, v0, v12
	v_cvt_u32_f32_e32 v16, v16
	v_trunc_f32_e32 v14, v14
	v_trunc_f32_e32 v13, v13
	v_mad_f32 v10, -v14, v0, v10
	v_cvt_u32_f32_e32 v14, v14
	v_mad_f32 v7, -v13, v0, v7
	v_cvt_u32_f32_e32 v13, v13
	v_cmp_ge_f32_e64 vcc, |v11|, v0
	v_cmp_ge_f32_e64 s[0:1], |v12|, v0
	v_cmp_ge_f32_e64 s[2:3], |v7|, v0
	;; [unrolled: 1-line block ×3, first 2 shown]
	v_addc_co_u32_e32 v7, vcc, 0, v15, vcc
	v_addc_co_u32_e64 v10, vcc, 0, v16, s[0:1]
	v_and_b32_e32 v10, 0xff, v10
	v_addc_co_u32_e64 v0, s[4:5], 0, v14, s[4:5]
	v_addc_co_u32_e64 v11, vcc, 0, v13, s[2:3]
	v_lshlrev_b32_e32 v10, 16, v10
	v_lshlrev_b32_sdwa v7, v6, v7 dst_sel:DWORD dst_unused:UNUSED_PAD src0_sel:DWORD src1_sel:BYTE_0
	v_and_b32_e32 v0, 0xff, v0
	v_lshl_or_b32 v10, v11, 24, v10
	v_or3_b32 v0, v10, v7, v0
	global_store_dword v[8:9], v0, off
	s_andn2_b64 exec, exec, s[6:7]
	s_cbranch_execnz .LBB48_24
.LBB48_25:
	s_endpgm
	.section	.rodata,"a",@progbits
	.p2align	6, 0x0
	.amdhsa_kernel _ZN2at6native12_GLOBAL__N_125multi_tensor_apply_kernelINS1_18TensorListMetadataILi1EEENS1_27BinaryOpScalarTensorFunctorIhLi1ELi1ELi0EEEJSt7dividesIhEPhhEEEvT_T0_DpT1_
		.amdhsa_group_segment_fixed_size 0
		.amdhsa_private_segment_fixed_size 0
		.amdhsa_kernarg_size 3648
		.amdhsa_user_sgpr_count 6
		.amdhsa_user_sgpr_private_segment_buffer 1
		.amdhsa_user_sgpr_dispatch_ptr 0
		.amdhsa_user_sgpr_queue_ptr 0
		.amdhsa_user_sgpr_kernarg_segment_ptr 1
		.amdhsa_user_sgpr_dispatch_id 0
		.amdhsa_user_sgpr_flat_scratch_init 0
		.amdhsa_user_sgpr_kernarg_preload_length 0
		.amdhsa_user_sgpr_kernarg_preload_offset 0
		.amdhsa_user_sgpr_private_segment_size 0
		.amdhsa_uses_dynamic_stack 0
		.amdhsa_system_sgpr_private_segment_wavefront_offset 0
		.amdhsa_system_sgpr_workgroup_id_x 1
		.amdhsa_system_sgpr_workgroup_id_y 0
		.amdhsa_system_sgpr_workgroup_id_z 0
		.amdhsa_system_sgpr_workgroup_info 0
		.amdhsa_system_vgpr_workitem_id 0
		.amdhsa_next_free_vgpr 28
		.amdhsa_next_free_sgpr 25
		.amdhsa_accum_offset 28
		.amdhsa_reserve_vcc 1
		.amdhsa_reserve_flat_scratch 0
		.amdhsa_float_round_mode_32 0
		.amdhsa_float_round_mode_16_64 0
		.amdhsa_float_denorm_mode_32 3
		.amdhsa_float_denorm_mode_16_64 3
		.amdhsa_dx10_clamp 1
		.amdhsa_ieee_mode 1
		.amdhsa_fp16_overflow 0
		.amdhsa_tg_split 0
		.amdhsa_exception_fp_ieee_invalid_op 0
		.amdhsa_exception_fp_denorm_src 0
		.amdhsa_exception_fp_ieee_div_zero 0
		.amdhsa_exception_fp_ieee_overflow 0
		.amdhsa_exception_fp_ieee_underflow 0
		.amdhsa_exception_fp_ieee_inexact 0
		.amdhsa_exception_int_div_zero 0
	.end_amdhsa_kernel
	.section	.text._ZN2at6native12_GLOBAL__N_125multi_tensor_apply_kernelINS1_18TensorListMetadataILi1EEENS1_27BinaryOpScalarTensorFunctorIhLi1ELi1ELi0EEEJSt7dividesIhEPhhEEEvT_T0_DpT1_,"axG",@progbits,_ZN2at6native12_GLOBAL__N_125multi_tensor_apply_kernelINS1_18TensorListMetadataILi1EEENS1_27BinaryOpScalarTensorFunctorIhLi1ELi1ELi0EEEJSt7dividesIhEPhhEEEvT_T0_DpT1_,comdat
.Lfunc_end48:
	.size	_ZN2at6native12_GLOBAL__N_125multi_tensor_apply_kernelINS1_18TensorListMetadataILi1EEENS1_27BinaryOpScalarTensorFunctorIhLi1ELi1ELi0EEEJSt7dividesIhEPhhEEEvT_T0_DpT1_, .Lfunc_end48-_ZN2at6native12_GLOBAL__N_125multi_tensor_apply_kernelINS1_18TensorListMetadataILi1EEENS1_27BinaryOpScalarTensorFunctorIhLi1ELi1ELi0EEEJSt7dividesIhEPhhEEEvT_T0_DpT1_
                                        ; -- End function
	.section	.AMDGPU.csdata,"",@progbits
; Kernel info:
; codeLenInByte = 1436
; NumSgprs: 29
; NumVgprs: 28
; NumAgprs: 0
; TotalNumVgprs: 28
; ScratchSize: 0
; MemoryBound: 0
; FloatMode: 240
; IeeeMode: 1
; LDSByteSize: 0 bytes/workgroup (compile time only)
; SGPRBlocks: 3
; VGPRBlocks: 3
; NumSGPRsForWavesPerEU: 29
; NumVGPRsForWavesPerEU: 28
; AccumOffset: 28
; Occupancy: 8
; WaveLimiterHint : 0
; COMPUTE_PGM_RSRC2:SCRATCH_EN: 0
; COMPUTE_PGM_RSRC2:USER_SGPR: 6
; COMPUTE_PGM_RSRC2:TRAP_HANDLER: 0
; COMPUTE_PGM_RSRC2:TGID_X_EN: 1
; COMPUTE_PGM_RSRC2:TGID_Y_EN: 0
; COMPUTE_PGM_RSRC2:TGID_Z_EN: 0
; COMPUTE_PGM_RSRC2:TIDIG_COMP_CNT: 0
; COMPUTE_PGM_RSRC3_GFX90A:ACCUM_OFFSET: 6
; COMPUTE_PGM_RSRC3_GFX90A:TG_SPLIT: 0
	.section	.text._ZN2at6native12_GLOBAL__N_125multi_tensor_apply_kernelINS1_18TensorListMetadataILi1EEENS1_27BinaryOpScalarTensorFunctorIaLi1ELi1ELi0EEEJSt7dividesIaEPaaEEEvT_T0_DpT1_,"axG",@progbits,_ZN2at6native12_GLOBAL__N_125multi_tensor_apply_kernelINS1_18TensorListMetadataILi1EEENS1_27BinaryOpScalarTensorFunctorIaLi1ELi1ELi0EEEJSt7dividesIaEPaaEEEvT_T0_DpT1_,comdat
	.globl	_ZN2at6native12_GLOBAL__N_125multi_tensor_apply_kernelINS1_18TensorListMetadataILi1EEENS1_27BinaryOpScalarTensorFunctorIaLi1ELi1ELi0EEEJSt7dividesIaEPaaEEEvT_T0_DpT1_ ; -- Begin function _ZN2at6native12_GLOBAL__N_125multi_tensor_apply_kernelINS1_18TensorListMetadataILi1EEENS1_27BinaryOpScalarTensorFunctorIaLi1ELi1ELi0EEEJSt7dividesIaEPaaEEEvT_T0_DpT1_
	.p2align	8
	.type	_ZN2at6native12_GLOBAL__N_125multi_tensor_apply_kernelINS1_18TensorListMetadataILi1EEENS1_27BinaryOpScalarTensorFunctorIaLi1ELi1ELi0EEEJSt7dividesIaEPaaEEEvT_T0_DpT1_,@function
_ZN2at6native12_GLOBAL__N_125multi_tensor_apply_kernelINS1_18TensorListMetadataILi1EEENS1_27BinaryOpScalarTensorFunctorIaLi1ELi1ELi0EEEJSt7dividesIaEPaaEEEvT_T0_DpT1_: ; @_ZN2at6native12_GLOBAL__N_125multi_tensor_apply_kernelINS1_18TensorListMetadataILi1EEENS1_27BinaryOpScalarTensorFunctorIaLi1ELi1ELi0EEEJSt7dividesIaEPaaEEEvT_T0_DpT1_
; %bb.0:
	v_mov_b32_e32 v1, s6
	global_load_ubyte v1, v1, s[4:5] offset:1760
	s_add_u32 s0, s4, s6
	s_mul_hi_u32 s1, s6, 3
	s_mul_i32 s6, s6, 3
	s_addc_u32 s2, s5, 0
	s_add_u32 s0, s0, s6
	s_addc_u32 s1, s2, s1
	s_load_dword s2, s[0:1], 0x820
	s_load_dword s21, s[4:5], 0xd38
	s_waitcnt vmcnt(0)
	v_readfirstlane_b32 s0, v1
	s_lshl_b32 s3, s0, 3
	s_load_dwordx2 s[0:1], s[4:5], s3 offset:0x0
	s_load_dwordx2 s[10:11], s[4:5], 0xd30
	s_load_dwordx2 s[6:7], s[4:5], s3 offset:0x370
	s_waitcnt lgkmcnt(0)
	s_ashr_i32 s3, s2, 31
	s_lshl_b64 s[2:3], s[2:3], 16
	s_add_u32 s20, s0, s2
	s_addc_u32 s22, s1, s3
	s_sub_u32 s12, s6, s2
	s_subb_u32 s13, s7, s3
	s_or_b32 s6, s6, s20
	s_and_b32 s6, s6, 3
	s_cmp_eq_u32 s6, 0
	s_cbranch_scc1 .LBB49_21
; %bb.1:
	v_cmp_lt_i64_e64 s[6:7], s[12:13], 1
	s_and_b64 vcc, exec, s[6:7]
	s_cbranch_vccnz .LBB49_20
; %bb.2:
	s_load_dword s6, s[4:5], 0xd4c
	v_mov_b32_e32 v2, 0x10000
	v_mov_b32_e32 v3, 0
	v_cmp_lt_u64_e32 vcc, s[12:13], v[2:3]
	v_mov_b32_e32 v2, s3
	s_waitcnt lgkmcnt(0)
	s_and_b32 s8, s6, 0xffff
	s_and_b64 s[6:7], vcc, exec
	s_cselect_b32 s15, s13, 0
	s_cselect_b32 s14, s12, 0x10000
	s_lshl_b32 s9, s8, 1
	s_mul_i32 s6, s8, 3
	s_lshl_b32 s23, s8, 2
	s_and_b32 s24, s21, 0xff
	s_add_u32 s7, s2, s6
	v_add_co_u32_e32 v3, vcc, s2, v0
	s_addc_u32 s16, s3, 0
	v_addc_co_u32_e32 v2, vcc, 0, v2, vcc
	s_add_u32 s7, s0, s7
	v_mov_b32_e32 v5, s1
	v_add_co_u32_e32 v4, vcc, s0, v3
	s_addc_u32 s16, s1, s16
	v_addc_co_u32_e32 v5, vcc, v5, v2, vcc
	s_add_u32 s2, s2, s9
	v_mov_b32_e32 v7, s16
	v_add_co_u32_e32 v6, vcc, s7, v0
	s_addc_u32 s3, s3, 0
	v_addc_co_u32_e32 v7, vcc, 0, v7, vcc
	s_add_u32 s2, s0, s2
	v_add_co_u32_e32 v8, vcc, s6, v0
	s_addc_u32 s3, s1, s3
	v_addc_co_u32_e64 v9, s[6:7], 0, 0, vcc
	v_mov_b32_e32 v11, s3
	v_add_co_u32_e32 v10, vcc, s2, v0
	v_addc_co_u32_e32 v11, vcc, 0, v11, vcc
	s_add_u32 s0, s0, s8
	v_add_co_u32_e32 v12, vcc, s9, v0
	s_addc_u32 s1, s1, 0
	v_addc_co_u32_e64 v13, s[2:3], 0, 0, vcc
	v_mov_b32_e32 v15, s1
	v_add_co_u32_e32 v14, vcc, s0, v3
	v_addc_co_u32_e32 v15, vcc, v15, v2, vcc
	v_add_co_u32_e32 v16, vcc, s8, v0
	v_mov_b32_e32 v1, 0
	v_addc_co_u32_e64 v17, s[0:1], 0, 0, vcc
	s_mov_b64 s[16:17], 0
	v_pk_mov_b32 v[2:3], s[12:13], s[12:13] op_sel:[0,1]
	s_branch .LBB49_4
.LBB49_3:                               ;   in Loop: Header=BB49_4 Depth=1
	s_or_b64 exec, exec, s[0:1]
	s_add_u32 s16, s16, s23
	v_mov_b32_e32 v18, 0x10000
	s_addc_u32 s17, s17, 0
	v_mov_b32_e32 v19, 0
	v_cmp_lt_i64_e32 vcc, s[16:17], v[2:3]
	v_cmp_lt_u64_e64 s[0:1], s[16:17], v[18:19]
	s_and_b64 s[0:1], vcc, s[0:1]
	s_and_b64 vcc, exec, s[0:1]
	s_cbranch_vccz .LBB49_20
.LBB49_4:                               ; =>This Inner Loop Header: Depth=1
	v_mov_b32_e32 v19, s17
	v_add_co_u32_e32 v18, vcc, s16, v0
	v_addc_co_u32_e32 v19, vcc, 0, v19, vcc
	v_cmp_gt_u64_e64 s[6:7], s[14:15], v[18:19]
	v_mov_b32_e32 v23, 0
	s_and_saveexec_b64 s[0:1], s[6:7]
	s_cbranch_execz .LBB49_6
; %bb.5:                                ;   in Loop: Header=BB49_4 Depth=1
	v_mov_b32_e32 v19, s17
	v_add_co_u32_e32 v18, vcc, s16, v4
	v_addc_co_u32_e32 v19, vcc, v5, v19, vcc
	global_load_ubyte v23, v[18:19], off
.LBB49_6:                               ;   in Loop: Header=BB49_4 Depth=1
	s_or_b64 exec, exec, s[0:1]
	v_mov_b32_e32 v19, s17
	v_add_co_u32_e32 v18, vcc, s16, v16
	v_addc_co_u32_e32 v19, vcc, v17, v19, vcc
	v_cmp_gt_u64_e64 s[2:3], s[14:15], v[18:19]
	v_mov_b32_e32 v18, 0
	v_mov_b32_e32 v24, 0
	s_and_saveexec_b64 s[0:1], s[2:3]
	s_cbranch_execz .LBB49_8
; %bb.7:                                ;   in Loop: Header=BB49_4 Depth=1
	v_mov_b32_e32 v19, s17
	v_add_co_u32_e32 v20, vcc, s16, v14
	v_addc_co_u32_e32 v21, vcc, v15, v19, vcc
	global_load_ubyte v24, v[20:21], off
.LBB49_8:                               ;   in Loop: Header=BB49_4 Depth=1
	s_or_b64 exec, exec, s[0:1]
	v_mov_b32_e32 v19, s17
	v_add_co_u32_e32 v20, vcc, s16, v12
	v_addc_co_u32_e32 v21, vcc, v13, v19, vcc
	v_cmp_gt_u64_e64 s[0:1], s[14:15], v[20:21]
	s_and_saveexec_b64 s[8:9], s[0:1]
	s_cbranch_execz .LBB49_10
; %bb.9:                                ;   in Loop: Header=BB49_4 Depth=1
	v_mov_b32_e32 v19, s17
	v_add_co_u32_e32 v18, vcc, s16, v10
	v_addc_co_u32_e32 v19, vcc, v11, v19, vcc
	global_load_ubyte v18, v[18:19], off
.LBB49_10:                              ;   in Loop: Header=BB49_4 Depth=1
	s_or_b64 exec, exec, s[8:9]
	v_mov_b32_e32 v19, s17
	v_add_co_u32_e32 v20, vcc, s16, v8
	v_addc_co_u32_e32 v21, vcc, v9, v19, vcc
	v_cmp_gt_u64_e32 vcc, s[14:15], v[20:21]
	v_mov_b32_e32 v19, 0
	s_and_saveexec_b64 s[18:19], vcc
	s_cbranch_execz .LBB49_12
; %bb.11:                               ;   in Loop: Header=BB49_4 Depth=1
	v_mov_b32_e32 v19, s17
	v_add_co_u32_e64 v20, s[8:9], s16, v6
	v_addc_co_u32_e64 v21, s[8:9], v7, v19, s[8:9]
	global_load_ubyte v19, v[20:21], off
.LBB49_12:                              ;   in Loop: Header=BB49_4 Depth=1
	s_or_b64 exec, exec, s[18:19]
	global_load_ubyte v20, v1, s[10:11]
	s_waitcnt vmcnt(0)
	v_mul_lo_u32 v22, v20, s24
	v_cvt_f32_i32_sdwa v20, sext(v22) dst_sel:DWORD dst_unused:UNUSED_PAD src0_sel:BYTE_0
	v_rcp_iflag_f32_e32 v21, v20
	s_and_saveexec_b64 s[8:9], s[6:7]
	s_cbranch_execnz .LBB49_16
; %bb.13:                               ;   in Loop: Header=BB49_4 Depth=1
	s_or_b64 exec, exec, s[8:9]
	v_and_b32_e32 v23, 0x7fffffff, v20
	s_and_saveexec_b64 s[6:7], s[2:3]
	s_cbranch_execnz .LBB49_17
.LBB49_14:                              ;   in Loop: Header=BB49_4 Depth=1
	s_or_b64 exec, exec, s[6:7]
	s_and_saveexec_b64 s[2:3], s[0:1]
	s_cbranch_execnz .LBB49_18
.LBB49_15:                              ;   in Loop: Header=BB49_4 Depth=1
	s_or_b64 exec, exec, s[2:3]
	s_and_saveexec_b64 s[0:1], vcc
	s_cbranch_execz .LBB49_3
	s_branch .LBB49_19
.LBB49_16:                              ;   in Loop: Header=BB49_4 Depth=1
	v_mov_b32_e32 v25, s17
	v_add_co_u32_e64 v26, s[6:7], s16, v4
	v_bfe_i32 v23, v23, 0, 8
	v_addc_co_u32_e64 v27, s[6:7], v5, v25, s[6:7]
	v_cvt_f32_i32_e32 v25, v23
	v_xor_b32_sdwa v23, v23, sext(v22) dst_sel:DWORD dst_unused:UNUSED_PAD src0_sel:DWORD src1_sel:BYTE_0
	v_ashrrev_i32_e32 v23, 30, v23
	v_or_b32_e32 v23, 1, v23
	v_mul_f32_e32 v28, v25, v21
	v_trunc_f32_e32 v28, v28
	v_cvt_i32_f32_e32 v29, v28
	v_mad_f32 v25, -v28, v20, v25
	v_cmp_ge_f32_e64 s[6:7], |v25|, |v20|
	v_cndmask_b32_e64 v23, 0, v23, s[6:7]
	v_add_u32_e32 v23, v29, v23
	global_store_byte v[26:27], v23, off
	s_or_b64 exec, exec, s[8:9]
	v_and_b32_e32 v23, 0x7fffffff, v20
	s_and_saveexec_b64 s[6:7], s[2:3]
	s_cbranch_execz .LBB49_14
.LBB49_17:                              ;   in Loop: Header=BB49_4 Depth=1
	v_bfe_i32 v24, v24, 0, 8
	v_cvt_f32_i32_e32 v25, v24
	v_xor_b32_sdwa v24, v24, sext(v22) dst_sel:DWORD dst_unused:UNUSED_PAD src0_sel:DWORD src1_sel:BYTE_0
	v_ashrrev_i32_e32 v24, 30, v24
	v_or_b32_e32 v24, 1, v24
	v_mul_f32_e32 v26, v25, v21
	v_trunc_f32_e32 v26, v26
	v_cvt_i32_f32_e32 v27, v26
	v_mad_f32 v25, -v26, v20, v25
	v_cmp_ge_f32_e64 s[2:3], |v25|, v23
	v_cndmask_b32_e64 v24, 0, v24, s[2:3]
	v_add_u32_e32 v26, v27, v24
	v_mov_b32_e32 v25, s17
	v_add_co_u32_e64 v24, s[2:3], s16, v14
	v_addc_co_u32_e64 v25, s[2:3], v15, v25, s[2:3]
	global_store_byte v[24:25], v26, off
	s_or_b64 exec, exec, s[6:7]
	s_and_saveexec_b64 s[2:3], s[0:1]
	s_cbranch_execz .LBB49_15
.LBB49_18:                              ;   in Loop: Header=BB49_4 Depth=1
	v_bfe_i32 v18, v18, 0, 8
	v_cvt_f32_i32_e32 v24, v18
	v_xor_b32_sdwa v18, v18, sext(v22) dst_sel:DWORD dst_unused:UNUSED_PAD src0_sel:DWORD src1_sel:BYTE_0
	v_ashrrev_i32_e32 v18, 30, v18
	v_or_b32_e32 v18, 1, v18
	v_mul_f32_e32 v25, v24, v21
	v_trunc_f32_e32 v25, v25
	v_cvt_i32_f32_e32 v26, v25
	v_mad_f32 v24, -v25, v20, v24
	v_cmp_ge_f32_e64 s[0:1], |v24|, v23
	v_cndmask_b32_e64 v18, 0, v18, s[0:1]
	v_mov_b32_e32 v25, s17
	v_add_co_u32_e64 v24, s[0:1], s16, v10
	v_add_u32_e32 v18, v26, v18
	v_addc_co_u32_e64 v25, s[0:1], v11, v25, s[0:1]
	global_store_byte v[24:25], v18, off
	s_or_b64 exec, exec, s[2:3]
	s_and_saveexec_b64 s[0:1], vcc
	s_cbranch_execz .LBB49_3
.LBB49_19:                              ;   in Loop: Header=BB49_4 Depth=1
	v_bfe_i32 v18, v19, 0, 8
	v_cvt_f32_i32_e32 v19, v18
	v_xor_b32_sdwa v18, v18, sext(v22) dst_sel:DWORD dst_unused:UNUSED_PAD src0_sel:DWORD src1_sel:BYTE_0
	v_ashrrev_i32_e32 v18, 30, v18
	v_or_b32_e32 v18, 1, v18
	v_mul_f32_e32 v21, v19, v21
	v_trunc_f32_e32 v21, v21
	v_cvt_i32_f32_e32 v22, v21
	v_mad_f32 v19, -v21, v20, v19
	v_cmp_ge_f32_e64 vcc, |v19|, v23
	v_cndmask_b32_e32 v18, 0, v18, vcc
	v_add_u32_e32 v20, v22, v18
	v_mov_b32_e32 v19, s17
	v_add_co_u32_e32 v18, vcc, s16, v6
	v_addc_co_u32_e32 v19, vcc, v7, v19, vcc
	global_store_byte v[18:19], v20, off
	s_branch .LBB49_3
.LBB49_20:
	s_cbranch_execz .LBB49_22
	s_branch .LBB49_25
.LBB49_21:
.LBB49_22:
	v_lshlrev_b32_e32 v0, 2, v0
	v_mov_b32_e32 v1, 0
	v_cmp_gt_i64_e32 vcc, s[12:13], v[0:1]
	s_and_saveexec_b64 s[0:1], vcc
	s_cbranch_execz .LBB49_25
; %bb.23:
	s_load_dword s0, s[4:5], 0xd4c
	s_mov_b32 s1, 0
	s_and_b32 s6, s21, 0xff
	s_mov_b64 s[2:3], 0
	v_mov_b32_e32 v4, s22
	s_waitcnt lgkmcnt(0)
	s_and_b32 s0, s0, 0xffff
	s_lshl_b32 s7, s0, 2
	v_mov_b32_e32 v5, s1
	s_mov_b64 s[4:5], 0xffff
	v_pk_mov_b32 v[2:3], v[0:1], v[0:1] op_sel:[0,1]
.LBB49_24:                              ; =>This Inner Loop Header: Depth=1
	v_add_co_u32_e32 v6, vcc, s20, v2
	v_addc_co_u32_e32 v7, vcc, v4, v3, vcc
	global_load_ubyte v0, v1, s[10:11]
	global_load_dword v8, v[6:7], off
	v_add_co_u32_e32 v2, vcc, s7, v2
	v_addc_co_u32_e32 v3, vcc, v5, v3, vcc
	v_cmp_le_i64_e32 vcc, s[12:13], v[2:3]
	v_cmp_lt_u64_e64 s[0:1], s[4:5], v[2:3]
	s_or_b64 s[0:1], vcc, s[0:1]
	s_and_b64 s[0:1], exec, s[0:1]
	s_or_b64 s[2:3], s[0:1], s[2:3]
	s_waitcnt vmcnt(1)
	v_mul_lo_u32 v0, v0, s6
	v_cvt_f32_i32_sdwa v11, sext(v0) dst_sel:DWORD dst_unused:UNUSED_PAD src0_sel:BYTE_0
	s_waitcnt vmcnt(0)
	v_cvt_f32_i32_sdwa v10, sext(v8) dst_sel:DWORD dst_unused:UNUSED_PAD src0_sel:BYTE_0
	v_cvt_f32_i32_sdwa v13, sext(v8) dst_sel:DWORD dst_unused:UNUSED_PAD src0_sel:BYTE_1
	v_cvt_f32_i32_sdwa v15, sext(v8) dst_sel:DWORD dst_unused:UNUSED_PAD src0_sel:BYTE_2
	v_rcp_iflag_f32_e32 v16, v11
	v_xor_b32_sdwa v9, sext(v8), sext(v0) dst_sel:DWORD dst_unused:UNUSED_PAD src0_sel:BYTE_0 src1_sel:BYTE_0
	v_xor_b32_sdwa v12, sext(v8), sext(v0) dst_sel:DWORD dst_unused:UNUSED_PAD src0_sel:BYTE_1 src1_sel:BYTE_0
	v_xor_b32_sdwa v14, sext(v8), sext(v0) dst_sel:DWORD dst_unused:UNUSED_PAD src0_sel:BYTE_2 src1_sel:BYTE_0
	v_xor_b32_sdwa v0, sext(v8), sext(v0) dst_sel:DWORD dst_unused:UNUSED_PAD src0_sel:BYTE_3 src1_sel:BYTE_0
	v_cvt_f32_i32_sdwa v8, sext(v8) dst_sel:DWORD dst_unused:UNUSED_PAD src0_sel:BYTE_3
	v_mul_f32_e32 v17, v10, v16
	v_mul_f32_e32 v18, v13, v16
	;; [unrolled: 1-line block ×3, first 2 shown]
	v_trunc_f32_e32 v17, v17
	v_ashrrev_i32_e32 v9, 30, v9
	v_trunc_f32_e32 v18, v18
	v_trunc_f32_e32 v19, v19
	v_mad_f32 v10, -v17, v11, v10
	v_ashrrev_i32_e32 v12, 30, v12
	v_or_b32_e32 v9, 1, v9
	v_mul_f32_e32 v16, v8, v16
	v_cvt_i32_f32_e32 v17, v17
	v_mad_f32 v13, -v18, v11, v13
	v_cvt_i32_f32_e32 v18, v18
	v_mad_f32 v15, -v19, v11, v15
	v_cvt_i32_f32_e32 v19, v19
	v_cmp_ge_f32_e64 vcc, |v10|, |v11|
	v_ashrrev_i32_e32 v14, 30, v14
	v_or_b32_e32 v12, 1, v12
	v_trunc_f32_e32 v16, v16
	v_cndmask_b32_e32 v9, 0, v9, vcc
	v_cmp_ge_f32_e64 vcc, |v13|, |v11|
	v_or_b32_e32 v14, 1, v14
	v_mad_f32 v8, -v16, v11, v8
	v_cvt_i32_f32_e32 v16, v16
	v_cndmask_b32_e32 v10, 0, v12, vcc
	v_cmp_ge_f32_e64 vcc, |v15|, |v11|
	v_ashrrev_i32_e32 v0, 30, v0
	v_cndmask_b32_e32 v12, 0, v14, vcc
	v_or_b32_e32 v0, 1, v0
	v_cmp_ge_f32_e64 vcc, |v8|, |v11|
	v_add_u32_e32 v8, v17, v9
	v_add_u32_sdwa v9, v18, v10 dst_sel:BYTE_1 dst_unused:UNUSED_PAD src0_sel:DWORD src1_sel:DWORD
	v_add_u32_e32 v10, v19, v12
	v_cndmask_b32_e32 v0, 0, v0, vcc
	v_and_b32_e32 v10, 0xff, v10
	v_add_u32_e32 v0, v16, v0
	v_lshlrev_b32_e32 v10, 16, v10
	v_and_b32_e32 v8, 0xff, v8
	v_lshl_or_b32 v0, v0, 24, v10
	v_or3_b32 v0, v0, v9, v8
	global_store_dword v[6:7], v0, off
	s_andn2_b64 exec, exec, s[2:3]
	s_cbranch_execnz .LBB49_24
.LBB49_25:
	s_endpgm
	.section	.rodata,"a",@progbits
	.p2align	6, 0x0
	.amdhsa_kernel _ZN2at6native12_GLOBAL__N_125multi_tensor_apply_kernelINS1_18TensorListMetadataILi1EEENS1_27BinaryOpScalarTensorFunctorIaLi1ELi1ELi0EEEJSt7dividesIaEPaaEEEvT_T0_DpT1_
		.amdhsa_group_segment_fixed_size 0
		.amdhsa_private_segment_fixed_size 0
		.amdhsa_kernarg_size 3648
		.amdhsa_user_sgpr_count 6
		.amdhsa_user_sgpr_private_segment_buffer 1
		.amdhsa_user_sgpr_dispatch_ptr 0
		.amdhsa_user_sgpr_queue_ptr 0
		.amdhsa_user_sgpr_kernarg_segment_ptr 1
		.amdhsa_user_sgpr_dispatch_id 0
		.amdhsa_user_sgpr_flat_scratch_init 0
		.amdhsa_user_sgpr_kernarg_preload_length 0
		.amdhsa_user_sgpr_kernarg_preload_offset 0
		.amdhsa_user_sgpr_private_segment_size 0
		.amdhsa_uses_dynamic_stack 0
		.amdhsa_system_sgpr_private_segment_wavefront_offset 0
		.amdhsa_system_sgpr_workgroup_id_x 1
		.amdhsa_system_sgpr_workgroup_id_y 0
		.amdhsa_system_sgpr_workgroup_id_z 0
		.amdhsa_system_sgpr_workgroup_info 0
		.amdhsa_system_vgpr_workitem_id 0
		.amdhsa_next_free_vgpr 30
		.amdhsa_next_free_sgpr 25
		.amdhsa_accum_offset 32
		.amdhsa_reserve_vcc 1
		.amdhsa_reserve_flat_scratch 0
		.amdhsa_float_round_mode_32 0
		.amdhsa_float_round_mode_16_64 0
		.amdhsa_float_denorm_mode_32 3
		.amdhsa_float_denorm_mode_16_64 3
		.amdhsa_dx10_clamp 1
		.amdhsa_ieee_mode 1
		.amdhsa_fp16_overflow 0
		.amdhsa_tg_split 0
		.amdhsa_exception_fp_ieee_invalid_op 0
		.amdhsa_exception_fp_denorm_src 0
		.amdhsa_exception_fp_ieee_div_zero 0
		.amdhsa_exception_fp_ieee_overflow 0
		.amdhsa_exception_fp_ieee_underflow 0
		.amdhsa_exception_fp_ieee_inexact 0
		.amdhsa_exception_int_div_zero 0
	.end_amdhsa_kernel
	.section	.text._ZN2at6native12_GLOBAL__N_125multi_tensor_apply_kernelINS1_18TensorListMetadataILi1EEENS1_27BinaryOpScalarTensorFunctorIaLi1ELi1ELi0EEEJSt7dividesIaEPaaEEEvT_T0_DpT1_,"axG",@progbits,_ZN2at6native12_GLOBAL__N_125multi_tensor_apply_kernelINS1_18TensorListMetadataILi1EEENS1_27BinaryOpScalarTensorFunctorIaLi1ELi1ELi0EEEJSt7dividesIaEPaaEEEvT_T0_DpT1_,comdat
.Lfunc_end49:
	.size	_ZN2at6native12_GLOBAL__N_125multi_tensor_apply_kernelINS1_18TensorListMetadataILi1EEENS1_27BinaryOpScalarTensorFunctorIaLi1ELi1ELi0EEEJSt7dividesIaEPaaEEEvT_T0_DpT1_, .Lfunc_end49-_ZN2at6native12_GLOBAL__N_125multi_tensor_apply_kernelINS1_18TensorListMetadataILi1EEENS1_27BinaryOpScalarTensorFunctorIaLi1ELi1ELi0EEEJSt7dividesIaEPaaEEEvT_T0_DpT1_
                                        ; -- End function
	.section	.AMDGPU.csdata,"",@progbits
; Kernel info:
; codeLenInByte = 1636
; NumSgprs: 29
; NumVgprs: 30
; NumAgprs: 0
; TotalNumVgprs: 30
; ScratchSize: 0
; MemoryBound: 0
; FloatMode: 240
; IeeeMode: 1
; LDSByteSize: 0 bytes/workgroup (compile time only)
; SGPRBlocks: 3
; VGPRBlocks: 3
; NumSGPRsForWavesPerEU: 29
; NumVGPRsForWavesPerEU: 30
; AccumOffset: 32
; Occupancy: 8
; WaveLimiterHint : 0
; COMPUTE_PGM_RSRC2:SCRATCH_EN: 0
; COMPUTE_PGM_RSRC2:USER_SGPR: 6
; COMPUTE_PGM_RSRC2:TRAP_HANDLER: 0
; COMPUTE_PGM_RSRC2:TGID_X_EN: 1
; COMPUTE_PGM_RSRC2:TGID_Y_EN: 0
; COMPUTE_PGM_RSRC2:TGID_Z_EN: 0
; COMPUTE_PGM_RSRC2:TIDIG_COMP_CNT: 0
; COMPUTE_PGM_RSRC3_GFX90A:ACCUM_OFFSET: 7
; COMPUTE_PGM_RSRC3_GFX90A:TG_SPLIT: 0
	.section	.text._ZN2at6native12_GLOBAL__N_125multi_tensor_apply_kernelINS1_18TensorListMetadataILi1EEENS1_27BinaryOpScalarTensorFunctorIiLi1ELi1ELi0EEEJSt7dividesIiEPiiEEEvT_T0_DpT1_,"axG",@progbits,_ZN2at6native12_GLOBAL__N_125multi_tensor_apply_kernelINS1_18TensorListMetadataILi1EEENS1_27BinaryOpScalarTensorFunctorIiLi1ELi1ELi0EEEJSt7dividesIiEPiiEEEvT_T0_DpT1_,comdat
	.globl	_ZN2at6native12_GLOBAL__N_125multi_tensor_apply_kernelINS1_18TensorListMetadataILi1EEENS1_27BinaryOpScalarTensorFunctorIiLi1ELi1ELi0EEEJSt7dividesIiEPiiEEEvT_T0_DpT1_ ; -- Begin function _ZN2at6native12_GLOBAL__N_125multi_tensor_apply_kernelINS1_18TensorListMetadataILi1EEENS1_27BinaryOpScalarTensorFunctorIiLi1ELi1ELi0EEEJSt7dividesIiEPiiEEEvT_T0_DpT1_
	.p2align	8
	.type	_ZN2at6native12_GLOBAL__N_125multi_tensor_apply_kernelINS1_18TensorListMetadataILi1EEENS1_27BinaryOpScalarTensorFunctorIiLi1ELi1ELi0EEEJSt7dividesIiEPiiEEEvT_T0_DpT1_,@function
_ZN2at6native12_GLOBAL__N_125multi_tensor_apply_kernelINS1_18TensorListMetadataILi1EEENS1_27BinaryOpScalarTensorFunctorIiLi1ELi1ELi0EEEJSt7dividesIiEPiiEEEvT_T0_DpT1_: ; @_ZN2at6native12_GLOBAL__N_125multi_tensor_apply_kernelINS1_18TensorListMetadataILi1EEENS1_27BinaryOpScalarTensorFunctorIiLi1ELi1ELi0EEEJSt7dividesIiEPiiEEEvT_T0_DpT1_
; %bb.0:
	v_mov_b32_e32 v1, s6
	global_load_ubyte v1, v1, s[4:5] offset:1760
	s_add_u32 s0, s4, s6
	s_mul_hi_u32 s1, s6, 3
	s_mul_i32 s6, s6, 3
	s_addc_u32 s2, s5, 0
	s_add_u32 s0, s0, s6
	s_addc_u32 s1, s2, s1
	s_load_dword s0, s[0:1], 0x820
	s_mov_b32 s7, 0
	s_load_dword s24, s[4:5], 0xd38
	s_waitcnt vmcnt(0)
	v_readfirstlane_b32 s1, v1
	s_lshl_b32 s1, s1, 3
	s_load_dwordx2 s[10:11], s[4:5], 0xd30
	s_load_dwordx2 s[2:3], s[4:5], s1 offset:0x370
	s_load_dwordx2 s[14:15], s[4:5], s1 offset:0x0
	s_waitcnt lgkmcnt(0)
	s_ashr_i32 s1, s0, 31
	s_lshl_b64 s[16:17], s[0:1], 18
	s_lshl_b64 s[0:1], s[0:1], 16
	s_and_b32 s6, s14, 15
	s_sub_u32 s12, s2, s0
	s_subb_u32 s13, s3, s1
	s_and_b32 s0, s2, 3
	s_mov_b32 s1, s7
	s_or_b64 s[0:1], s[6:7], s[0:1]
	s_cmp_eq_u64 s[0:1], 0
	s_cbranch_scc1 .LBB50_21
; %bb.1:
	v_cmp_lt_i64_e64 s[0:1], s[12:13], 1
	s_and_b64 vcc, exec, s[0:1]
	s_cbranch_vccnz .LBB50_20
; %bb.2:
	s_load_dword s0, s[4:5], 0xd4c
	v_mov_b32_e32 v2, 0x10000
	v_mov_b32_e32 v3, 0
	v_cmp_lt_u64_e32 vcc, s[12:13], v[2:3]
	v_lshlrev_b32_e32 v2, 2, v0
	s_waitcnt lgkmcnt(0)
	s_and_b32 s3, s0, 0xffff
	s_and_b64 s[0:1], vcc, exec
	s_cselect_b32 s19, s13, 0
	s_cselect_b32 s18, s12, 0x10000
	s_lshl_b32 s6, s3, 1
	s_lshl_b32 s25, s3, 2
	s_add_u32 s7, s14, s16
	s_addc_u32 s8, s15, s17
	v_mov_b32_e32 v3, s8
	v_add_co_u32_e32 v2, vcc, s7, v2
	s_mul_i32 s0, s3, 3
	v_addc_co_u32_e32 v3, vcc, 0, v3, vcc
	v_add_co_u32_e32 v8, vcc, s0, v0
	v_addc_co_u32_e64 v9, s[0:1], 0, 0, vcc
	v_add_co_u32_e32 v10, vcc, s6, v0
	v_addc_co_u32_e64 v11, s[0:1], 0, 0, vcc
	v_add_co_u32_e32 v12, vcc, s3, v0
	v_lshlrev_b32_e32 v4, 2, v12
	s_mov_b32 s2, 0
	v_addc_co_u32_e64 v13, s[0:1], 0, 0, vcc
	v_mov_b32_e32 v5, s8
	v_add_co_u32_e32 v4, vcc, s7, v4
	v_mov_b32_e32 v1, 0
	s_lshl_b32 s26, s3, 4
	s_mul_i32 s27, s3, 12
	s_mov_b32 s28, s2
	s_lshl_b32 s29, s3, 3
	s_mov_b32 s30, s2
	v_addc_co_u32_e32 v5, vcc, 0, v5, vcc
	s_mov_b64 s[20:21], 0
	v_pk_mov_b32 v[6:7], s[12:13], s[12:13] op_sel:[0,1]
	v_mov_b32_e32 v14, s2
	s_branch .LBB50_4
.LBB50_3:                               ;   in Loop: Header=BB50_4 Depth=1
	s_or_b64 exec, exec, s[0:1]
	s_add_u32 s20, s20, s25
	v_mov_b32_e32 v16, 0x10000
	s_addc_u32 s21, s21, 0
	v_mov_b32_e32 v17, 0
	v_cmp_lt_i64_e32 vcc, s[20:21], v[6:7]
	v_cmp_lt_u64_e64 s[0:1], s[20:21], v[16:17]
	s_and_b64 s[0:1], vcc, s[0:1]
	v_add_co_u32_e32 v2, vcc, s26, v2
	v_addc_co_u32_e32 v3, vcc, v3, v14, vcc
	v_add_co_u32_e32 v4, vcc, s26, v4
	v_addc_co_u32_e32 v5, vcc, v5, v14, vcc
	s_and_b64 vcc, exec, s[0:1]
	s_cbranch_vccz .LBB50_20
.LBB50_4:                               ; =>This Inner Loop Header: Depth=1
	v_mov_b32_e32 v15, s21
	v_add_co_u32_e32 v16, vcc, s20, v0
	v_addc_co_u32_e32 v17, vcc, 0, v15, vcc
	v_cmp_gt_u64_e64 s[6:7], s[18:19], v[16:17]
	v_mov_b32_e32 v18, 0
	s_and_saveexec_b64 s[0:1], s[6:7]
	s_cbranch_execz .LBB50_6
; %bb.5:                                ;   in Loop: Header=BB50_4 Depth=1
	global_load_dword v18, v[2:3], off
.LBB50_6:                               ;   in Loop: Header=BB50_4 Depth=1
	s_or_b64 exec, exec, s[0:1]
	v_mov_b32_e32 v15, s21
	v_add_co_u32_e32 v16, vcc, s20, v12
	v_addc_co_u32_e32 v17, vcc, v13, v15, vcc
	v_cmp_gt_u64_e64 s[2:3], s[18:19], v[16:17]
	v_mov_b32_e32 v15, 0
	v_mov_b32_e32 v17, 0
	s_and_saveexec_b64 s[0:1], s[2:3]
	s_cbranch_execz .LBB50_8
; %bb.7:                                ;   in Loop: Header=BB50_4 Depth=1
	global_load_dword v17, v[4:5], off
.LBB50_8:                               ;   in Loop: Header=BB50_4 Depth=1
	s_or_b64 exec, exec, s[0:1]
	v_mov_b32_e32 v16, s21
	v_add_co_u32_e32 v20, vcc, s20, v10
	v_addc_co_u32_e32 v21, vcc, v11, v16, vcc
	v_cmp_gt_u64_e64 s[0:1], s[18:19], v[20:21]
	s_and_saveexec_b64 s[8:9], s[0:1]
	s_cbranch_execz .LBB50_10
; %bb.9:                                ;   in Loop: Header=BB50_4 Depth=1
	v_mov_b32_e32 v15, s30
	v_add_co_u32_e32 v20, vcc, s29, v2
	v_addc_co_u32_e32 v21, vcc, v3, v15, vcc
	global_load_dword v15, v[20:21], off
.LBB50_10:                              ;   in Loop: Header=BB50_4 Depth=1
	s_or_b64 exec, exec, s[8:9]
	v_mov_b32_e32 v16, s21
	v_add_co_u32_e32 v20, vcc, s20, v8
	v_addc_co_u32_e32 v21, vcc, v9, v16, vcc
	v_cmp_gt_u64_e32 vcc, s[18:19], v[20:21]
	v_mov_b32_e32 v16, 0
	s_and_saveexec_b64 s[22:23], vcc
	s_cbranch_execz .LBB50_12
; %bb.11:                               ;   in Loop: Header=BB50_4 Depth=1
	v_mov_b32_e32 v16, s28
	v_add_co_u32_e64 v20, s[8:9], s27, v2
	v_addc_co_u32_e64 v21, s[8:9], v3, v16, s[8:9]
	global_load_dword v16, v[20:21], off
.LBB50_12:                              ;   in Loop: Header=BB50_4 Depth=1
	s_or_b64 exec, exec, s[22:23]
	global_load_dword v19, v1, s[10:11]
	s_waitcnt vmcnt(0)
	v_readfirstlane_b32 s8, v19
	s_mul_i32 s8, s8, s24
	s_abs_i32 s22, s8
	v_cvt_f32_u32_e32 v19, s22
	s_ashr_i32 s23, s8, 31
	s_sub_i32 s8, 0, s22
	v_rcp_iflag_f32_e32 v19, v19
	v_mul_f32_e32 v19, 0x4f7ffffe, v19
	v_cvt_u32_f32_e32 v19, v19
	v_mul_lo_u32 v20, s8, v19
	v_mul_hi_u32 v20, v19, v20
	v_add_u32_e32 v19, v19, v20
	s_and_saveexec_b64 s[8:9], s[6:7]
	s_cbranch_execnz .LBB50_16
; %bb.13:                               ;   in Loop: Header=BB50_4 Depth=1
	s_or_b64 exec, exec, s[8:9]
	s_and_saveexec_b64 s[6:7], s[2:3]
	s_cbranch_execnz .LBB50_17
.LBB50_14:                              ;   in Loop: Header=BB50_4 Depth=1
	s_or_b64 exec, exec, s[6:7]
	s_and_saveexec_b64 s[2:3], s[0:1]
	s_cbranch_execnz .LBB50_18
.LBB50_15:                              ;   in Loop: Header=BB50_4 Depth=1
	s_or_b64 exec, exec, s[2:3]
	s_and_saveexec_b64 s[0:1], vcc
	s_cbranch_execz .LBB50_3
	s_branch .LBB50_19
.LBB50_16:                              ;   in Loop: Header=BB50_4 Depth=1
	v_sub_u32_e32 v21, 0, v18
	v_ashrrev_i32_e32 v20, 31, v18
	v_max_i32_e32 v18, v18, v21
	v_mul_hi_u32 v21, v18, v19
	v_mul_lo_u32 v22, v21, s22
	v_sub_u32_e32 v18, v18, v22
	v_add_u32_e32 v22, 1, v21
	v_cmp_le_u32_e64 s[6:7], s22, v18
	v_cndmask_b32_e64 v21, v21, v22, s[6:7]
	v_subrev_u32_e32 v22, s22, v18
	v_cndmask_b32_e64 v18, v18, v22, s[6:7]
	v_add_u32_e32 v22, 1, v21
	v_cmp_le_u32_e64 s[6:7], s22, v18
	v_xor_b32_e32 v20, s23, v20
	v_cndmask_b32_e64 v18, v21, v22, s[6:7]
	v_xor_b32_e32 v18, v18, v20
	v_sub_u32_e32 v18, v18, v20
	global_store_dword v[2:3], v18, off
	s_or_b64 exec, exec, s[8:9]
	s_and_saveexec_b64 s[6:7], s[2:3]
	s_cbranch_execz .LBB50_14
.LBB50_17:                              ;   in Loop: Header=BB50_4 Depth=1
	v_sub_u32_e32 v20, 0, v17
	v_ashrrev_i32_e32 v18, 31, v17
	v_max_i32_e32 v17, v17, v20
	v_mul_hi_u32 v20, v17, v19
	v_mul_lo_u32 v21, v20, s22
	v_sub_u32_e32 v17, v17, v21
	v_add_u32_e32 v21, 1, v20
	v_cmp_le_u32_e64 s[2:3], s22, v17
	v_cndmask_b32_e64 v20, v20, v21, s[2:3]
	v_subrev_u32_e32 v21, s22, v17
	v_cndmask_b32_e64 v17, v17, v21, s[2:3]
	v_add_u32_e32 v21, 1, v20
	v_cmp_le_u32_e64 s[2:3], s22, v17
	v_xor_b32_e32 v18, s23, v18
	v_cndmask_b32_e64 v17, v20, v21, s[2:3]
	v_xor_b32_e32 v17, v17, v18
	v_sub_u32_e32 v17, v17, v18
	global_store_dword v[4:5], v17, off
	s_or_b64 exec, exec, s[6:7]
	s_and_saveexec_b64 s[2:3], s[0:1]
	s_cbranch_execz .LBB50_15
.LBB50_18:                              ;   in Loop: Header=BB50_4 Depth=1
	v_sub_u32_e32 v18, 0, v15
	v_ashrrev_i32_e32 v17, 31, v15
	v_max_i32_e32 v15, v15, v18
	v_mul_hi_u32 v18, v15, v19
	v_mul_lo_u32 v20, v18, s22
	v_sub_u32_e32 v15, v15, v20
	v_add_u32_e32 v20, 1, v18
	v_cmp_le_u32_e64 s[0:1], s22, v15
	v_cndmask_b32_e64 v18, v18, v20, s[0:1]
	v_subrev_u32_e32 v20, s22, v15
	v_cndmask_b32_e64 v15, v15, v20, s[0:1]
	v_add_u32_e32 v20, 1, v18
	v_cmp_le_u32_e64 s[0:1], s22, v15
	v_xor_b32_e32 v17, s23, v17
	v_cndmask_b32_e64 v15, v18, v20, s[0:1]
	v_xor_b32_e32 v15, v15, v17
	v_sub_u32_e32 v15, v15, v17
	v_mov_b32_e32 v17, s30
	v_add_co_u32_e64 v20, s[0:1], s29, v2
	v_addc_co_u32_e64 v21, s[0:1], v3, v17, s[0:1]
	global_store_dword v[20:21], v15, off
	s_or_b64 exec, exec, s[2:3]
	s_and_saveexec_b64 s[0:1], vcc
	s_cbranch_execz .LBB50_3
.LBB50_19:                              ;   in Loop: Header=BB50_4 Depth=1
	v_sub_u32_e32 v17, 0, v16
	v_ashrrev_i32_e32 v15, 31, v16
	v_max_i32_e32 v16, v16, v17
	v_mul_hi_u32 v17, v16, v19
	v_mul_lo_u32 v18, v17, s22
	v_sub_u32_e32 v16, v16, v18
	v_add_u32_e32 v18, 1, v17
	v_cmp_le_u32_e32 vcc, s22, v16
	v_cndmask_b32_e32 v17, v17, v18, vcc
	v_subrev_u32_e32 v18, s22, v16
	v_cndmask_b32_e32 v16, v16, v18, vcc
	v_add_u32_e32 v18, 1, v17
	v_cmp_le_u32_e32 vcc, s22, v16
	v_xor_b32_e32 v15, s23, v15
	v_cndmask_b32_e32 v16, v17, v18, vcc
	v_xor_b32_e32 v16, v16, v15
	v_sub_u32_e32 v15, v16, v15
	v_mov_b32_e32 v17, s28
	v_add_co_u32_e32 v16, vcc, s27, v2
	v_addc_co_u32_e32 v17, vcc, v3, v17, vcc
	global_store_dword v[16:17], v15, off
	s_branch .LBB50_3
.LBB50_20:
	s_cbranch_execz .LBB50_22
	s_branch .LBB50_25
.LBB50_21:
.LBB50_22:
	v_mov_b32_e32 v3, 0
	v_lshlrev_b32_e32 v2, 2, v0
	s_mov_b32 s0, 0
	v_cmp_gt_i64_e32 vcc, s[12:13], v[2:3]
	s_and_saveexec_b64 s[2:3], vcc
	s_cbranch_execz .LBB50_25
; %bb.23:
	s_load_dword s1, s[4:5], 0xd4c
	v_lshlrev_b32_e32 v1, 4, v0
	s_mov_b64 s[6:7], 0
	s_mov_b64 s[8:9], 0xffff
	v_mov_b32_e32 v6, s0
	s_waitcnt lgkmcnt(0)
	s_and_b32 s1, s1, 0xffff
	s_add_u32 s2, s14, s16
	s_addc_u32 s3, s15, s17
	v_mov_b32_e32 v2, s3
	v_add_co_u32_e32 v1, vcc, s2, v1
	v_addc_co_u32_e32 v2, vcc, 0, v2, vcc
	v_add_co_u32_e32 v4, vcc, 8, v1
	v_addc_co_u32_e32 v5, vcc, 0, v2, vcc
	v_add_lshl_u32 v2, v0, s1, 2
	s_lshl_b32 s14, s1, 4
	s_lshl_b32 s15, s1, 2
	v_mov_b32_e32 v7, s0
	v_pk_mov_b32 v[0:1], v[2:3], v[2:3] op_sel:[0,1]
.LBB50_24:                              ; =>This Inner Loop Header: Depth=1
	global_load_dword v2, v3, s[10:11]
	global_load_dwordx4 v[8:11], v[4:5], off offset:-8
	v_cmp_le_i64_e32 vcc, s[12:13], v[0:1]
	v_cmp_lt_u64_e64 s[0:1], s[8:9], v[0:1]
	v_add_co_u32_e64 v0, s[2:3], s15, v0
	v_addc_co_u32_e64 v1, s[2:3], v1, v7, s[2:3]
	s_or_b64 s[0:1], vcc, s[0:1]
	s_waitcnt vmcnt(1)
	v_readfirstlane_b32 s2, v2
	s_mul_i32 s2, s2, s24
	s_waitcnt vmcnt(0)
	v_sub_u32_e32 v12, 0, v8
	s_abs_i32 s16, s2
	v_ashrrev_i32_e32 v2, 31, v8
	v_max_i32_e32 v8, v8, v12
	v_cvt_f32_u32_e32 v12, s16
	v_sub_u32_e32 v16, 0, v10
	s_ashr_i32 s3, s2, 31
	s_sub_i32 s2, 0, s16
	v_rcp_iflag_f32_e32 v12, v12
	v_ashrrev_i32_e32 v15, 31, v10
	v_max_i32_e32 v10, v10, v16
	v_sub_u32_e32 v14, 0, v9
	v_mul_f32_e32 v12, 0x4f7ffffe, v12
	v_cvt_u32_f32_e32 v12, v12
	v_ashrrev_i32_e32 v13, 31, v9
	v_ashrrev_i32_e32 v17, 31, v11
	v_max_i32_e32 v9, v9, v14
	v_mul_lo_u32 v16, s2, v12
	v_mul_hi_u32 v16, v12, v16
	v_add_u32_e32 v12, v12, v16
	v_mul_hi_u32 v16, v8, v12
	v_sub_u32_e32 v18, 0, v11
	v_xor_b32_e32 v14, s3, v15
	v_xor_b32_e32 v15, s3, v17
	v_mul_hi_u32 v17, v9, v12
	v_mul_lo_u32 v19, v16, s16
	v_max_i32_e32 v11, v11, v18
	v_mul_hi_u32 v18, v10, v12
	v_mul_lo_u32 v21, v17, s16
	v_sub_u32_e32 v8, v8, v19
	s_and_b64 s[0:1], exec, s[0:1]
	v_mul_hi_u32 v12, v11, v12
	v_add_u32_e32 v20, 1, v16
	v_mul_lo_u32 v23, v18, s16
	v_sub_u32_e32 v9, v9, v21
	v_cmp_le_u32_e32 vcc, s16, v8
	v_subrev_u32_e32 v19, s16, v8
	s_or_b64 s[6:7], s[0:1], s[6:7]
	v_add_u32_e32 v22, 1, v17
	v_mul_lo_u32 v25, v12, s16
	v_sub_u32_e32 v10, v10, v23
	v_cndmask_b32_e32 v16, v16, v20, vcc
	v_cmp_le_u32_e64 s[0:1], s16, v9
	v_subrev_u32_e32 v20, s16, v9
	v_cndmask_b32_e32 v8, v8, v19, vcc
	v_xor_b32_e32 v2, s3, v2
	v_xor_b32_e32 v13, s3, v13
	v_add_u32_e32 v24, 1, v18
	v_sub_u32_e32 v11, v11, v25
	v_cndmask_b32_e64 v17, v17, v22, s[0:1]
	v_cmp_le_u32_e64 s[2:3], s16, v10
	v_subrev_u32_e32 v21, s16, v10
	v_add_u32_e32 v19, 1, v16
	v_cndmask_b32_e64 v9, v9, v20, s[0:1]
	v_cmp_le_u32_e32 vcc, s16, v8
	v_add_u32_e32 v26, 1, v12
	v_cndmask_b32_e64 v18, v18, v24, s[2:3]
	v_cmp_le_u32_e64 s[4:5], s16, v11
	v_subrev_u32_e32 v22, s16, v11
	v_add_u32_e32 v20, 1, v17
	v_cndmask_b32_e64 v10, v10, v21, s[2:3]
	v_cndmask_b32_e32 v8, v16, v19, vcc
	v_cmp_le_u32_e32 vcc, s16, v9
	v_cndmask_b32_e64 v12, v12, v26, s[4:5]
	v_add_u32_e32 v21, 1, v18
	v_cndmask_b32_e64 v11, v11, v22, s[4:5]
	v_cndmask_b32_e32 v9, v17, v20, vcc
	v_cmp_le_u32_e32 vcc, s16, v10
	v_add_u32_e32 v22, 1, v12
	v_cndmask_b32_e32 v10, v18, v21, vcc
	v_cmp_le_u32_e32 vcc, s16, v11
	v_cndmask_b32_e32 v11, v12, v22, vcc
	v_xor_b32_e32 v8, v8, v2
	v_xor_b32_e32 v9, v9, v13
	;; [unrolled: 1-line block ×4, first 2 shown]
	v_sub_u32_e32 v8, v8, v2
	v_sub_u32_e32 v9, v9, v13
	;; [unrolled: 1-line block ×4, first 2 shown]
	global_store_dwordx4 v[4:5], v[8:11], off offset:-8
	v_add_co_u32_e32 v4, vcc, s14, v4
	v_addc_co_u32_e32 v5, vcc, v5, v6, vcc
	s_andn2_b64 exec, exec, s[6:7]
	s_cbranch_execnz .LBB50_24
.LBB50_25:
	s_endpgm
	.section	.rodata,"a",@progbits
	.p2align	6, 0x0
	.amdhsa_kernel _ZN2at6native12_GLOBAL__N_125multi_tensor_apply_kernelINS1_18TensorListMetadataILi1EEENS1_27BinaryOpScalarTensorFunctorIiLi1ELi1ELi0EEEJSt7dividesIiEPiiEEEvT_T0_DpT1_
		.amdhsa_group_segment_fixed_size 0
		.amdhsa_private_segment_fixed_size 0
		.amdhsa_kernarg_size 3648
		.amdhsa_user_sgpr_count 6
		.amdhsa_user_sgpr_private_segment_buffer 1
		.amdhsa_user_sgpr_dispatch_ptr 0
		.amdhsa_user_sgpr_queue_ptr 0
		.amdhsa_user_sgpr_kernarg_segment_ptr 1
		.amdhsa_user_sgpr_dispatch_id 0
		.amdhsa_user_sgpr_flat_scratch_init 0
		.amdhsa_user_sgpr_kernarg_preload_length 0
		.amdhsa_user_sgpr_kernarg_preload_offset 0
		.amdhsa_user_sgpr_private_segment_size 0
		.amdhsa_uses_dynamic_stack 0
		.amdhsa_system_sgpr_private_segment_wavefront_offset 0
		.amdhsa_system_sgpr_workgroup_id_x 1
		.amdhsa_system_sgpr_workgroup_id_y 0
		.amdhsa_system_sgpr_workgroup_id_z 0
		.amdhsa_system_sgpr_workgroup_info 0
		.amdhsa_system_vgpr_workitem_id 0
		.amdhsa_next_free_vgpr 27
		.amdhsa_next_free_sgpr 31
		.amdhsa_accum_offset 28
		.amdhsa_reserve_vcc 1
		.amdhsa_reserve_flat_scratch 0
		.amdhsa_float_round_mode_32 0
		.amdhsa_float_round_mode_16_64 0
		.amdhsa_float_denorm_mode_32 3
		.amdhsa_float_denorm_mode_16_64 3
		.amdhsa_dx10_clamp 1
		.amdhsa_ieee_mode 1
		.amdhsa_fp16_overflow 0
		.amdhsa_tg_split 0
		.amdhsa_exception_fp_ieee_invalid_op 0
		.amdhsa_exception_fp_denorm_src 0
		.amdhsa_exception_fp_ieee_div_zero 0
		.amdhsa_exception_fp_ieee_overflow 0
		.amdhsa_exception_fp_ieee_underflow 0
		.amdhsa_exception_fp_ieee_inexact 0
		.amdhsa_exception_int_div_zero 0
	.end_amdhsa_kernel
	.section	.text._ZN2at6native12_GLOBAL__N_125multi_tensor_apply_kernelINS1_18TensorListMetadataILi1EEENS1_27BinaryOpScalarTensorFunctorIiLi1ELi1ELi0EEEJSt7dividesIiEPiiEEEvT_T0_DpT1_,"axG",@progbits,_ZN2at6native12_GLOBAL__N_125multi_tensor_apply_kernelINS1_18TensorListMetadataILi1EEENS1_27BinaryOpScalarTensorFunctorIiLi1ELi1ELi0EEEJSt7dividesIiEPiiEEEvT_T0_DpT1_,comdat
.Lfunc_end50:
	.size	_ZN2at6native12_GLOBAL__N_125multi_tensor_apply_kernelINS1_18TensorListMetadataILi1EEENS1_27BinaryOpScalarTensorFunctorIiLi1ELi1ELi0EEEJSt7dividesIiEPiiEEEvT_T0_DpT1_, .Lfunc_end50-_ZN2at6native12_GLOBAL__N_125multi_tensor_apply_kernelINS1_18TensorListMetadataILi1EEENS1_27BinaryOpScalarTensorFunctorIiLi1ELi1ELi0EEEJSt7dividesIiEPiiEEEvT_T0_DpT1_
                                        ; -- End function
	.section	.AMDGPU.csdata,"",@progbits
; Kernel info:
; codeLenInByte = 1820
; NumSgprs: 35
; NumVgprs: 27
; NumAgprs: 0
; TotalNumVgprs: 27
; ScratchSize: 0
; MemoryBound: 0
; FloatMode: 240
; IeeeMode: 1
; LDSByteSize: 0 bytes/workgroup (compile time only)
; SGPRBlocks: 4
; VGPRBlocks: 3
; NumSGPRsForWavesPerEU: 35
; NumVGPRsForWavesPerEU: 27
; AccumOffset: 28
; Occupancy: 8
; WaveLimiterHint : 0
; COMPUTE_PGM_RSRC2:SCRATCH_EN: 0
; COMPUTE_PGM_RSRC2:USER_SGPR: 6
; COMPUTE_PGM_RSRC2:TRAP_HANDLER: 0
; COMPUTE_PGM_RSRC2:TGID_X_EN: 1
; COMPUTE_PGM_RSRC2:TGID_Y_EN: 0
; COMPUTE_PGM_RSRC2:TGID_Z_EN: 0
; COMPUTE_PGM_RSRC2:TIDIG_COMP_CNT: 0
; COMPUTE_PGM_RSRC3_GFX90A:ACCUM_OFFSET: 6
; COMPUTE_PGM_RSRC3_GFX90A:TG_SPLIT: 0
	.section	.text._ZN2at6native12_GLOBAL__N_125multi_tensor_apply_kernelINS1_18TensorListMetadataILi1EEENS1_27BinaryOpScalarTensorFunctorIlLi1ELi1ELi0EEEJSt7dividesIlEPllEEEvT_T0_DpT1_,"axG",@progbits,_ZN2at6native12_GLOBAL__N_125multi_tensor_apply_kernelINS1_18TensorListMetadataILi1EEENS1_27BinaryOpScalarTensorFunctorIlLi1ELi1ELi0EEEJSt7dividesIlEPllEEEvT_T0_DpT1_,comdat
	.globl	_ZN2at6native12_GLOBAL__N_125multi_tensor_apply_kernelINS1_18TensorListMetadataILi1EEENS1_27BinaryOpScalarTensorFunctorIlLi1ELi1ELi0EEEJSt7dividesIlEPllEEEvT_T0_DpT1_ ; -- Begin function _ZN2at6native12_GLOBAL__N_125multi_tensor_apply_kernelINS1_18TensorListMetadataILi1EEENS1_27BinaryOpScalarTensorFunctorIlLi1ELi1ELi0EEEJSt7dividesIlEPllEEEvT_T0_DpT1_
	.p2align	8
	.type	_ZN2at6native12_GLOBAL__N_125multi_tensor_apply_kernelINS1_18TensorListMetadataILi1EEENS1_27BinaryOpScalarTensorFunctorIlLi1ELi1ELi0EEEJSt7dividesIlEPllEEEvT_T0_DpT1_,@function
_ZN2at6native12_GLOBAL__N_125multi_tensor_apply_kernelINS1_18TensorListMetadataILi1EEENS1_27BinaryOpScalarTensorFunctorIlLi1ELi1ELi0EEEJSt7dividesIlEPllEEEvT_T0_DpT1_: ; @_ZN2at6native12_GLOBAL__N_125multi_tensor_apply_kernelINS1_18TensorListMetadataILi1EEENS1_27BinaryOpScalarTensorFunctorIlLi1ELi1ELi0EEEJSt7dividesIlEPllEEEvT_T0_DpT1_
; %bb.0:
	v_mov_b32_e32 v1, s6
	global_load_ubyte v1, v1, s[4:5] offset:1760
	s_add_u32 s0, s4, s6
	s_mul_hi_u32 s1, s6, 3
	s_mul_i32 s6, s6, 3
	s_addc_u32 s2, s5, 0
	s_add_u32 s0, s0, s6
	s_addc_u32 s1, s2, s1
	s_load_dword s0, s[0:1], 0x820
	s_mov_b32 s7, 0
	s_load_dwordx4 s[12:15], s[4:5], 0xd30
	s_waitcnt vmcnt(0)
	v_readfirstlane_b32 s1, v1
	s_lshl_b32 s1, s1, 3
	s_load_dwordx2 s[2:3], s[4:5], s1 offset:0x370
	s_load_dwordx2 s[18:19], s[4:5], s1 offset:0x0
	s_waitcnt lgkmcnt(0)
	s_ashr_i32 s1, s0, 31
	s_lshl_b64 s[20:21], s[0:1], 19
	s_lshl_b64 s[0:1], s[0:1], 16
	s_and_b32 s6, s18, 31
	s_sub_u32 s16, s2, s0
	s_subb_u32 s17, s3, s1
	s_and_b32 s0, s2, 3
	s_mov_b32 s1, s7
	s_or_b64 s[0:1], s[6:7], s[0:1]
	s_cmp_eq_u64 s[0:1], 0
	s_cbranch_scc1 .LBB51_37
; %bb.1:
	v_cmp_lt_i64_e64 s[0:1], s[16:17], 1
	s_and_b64 vcc, exec, s[0:1]
	s_cbranch_vccnz .LBB51_36
; %bb.2:
	s_load_dword s0, s[4:5], 0xd4c
	v_mov_b32_e32 v4, 0x10000
	v_mov_b32_e32 v5, 0
	v_cmp_lt_u64_e32 vcc, s[16:17], v[4:5]
	v_lshlrev_b32_e32 v1, 3, v0
	s_waitcnt lgkmcnt(0)
	s_and_b32 s2, s0, 0xffff
	s_and_b64 s[0:1], vcc, exec
	s_cselect_b32 s23, s17, 0
	s_cselect_b32 s22, s16, 0x10000
	s_lshl_b32 s3, s2, 1
	s_lshl_b32 s34, s2, 2
	s_add_u32 s6, s18, s20
	s_addc_u32 s7, s19, s21
	v_mov_b32_e32 v3, s7
	v_add_co_u32_e32 v4, vcc, s6, v1
	s_mul_i32 s0, s2, 3
	v_addc_co_u32_e32 v5, vcc, 0, v3, vcc
	v_add_co_u32_e32 v1, vcc, s0, v0
	v_addc_co_u32_e64 v18, s[0:1], 0, 0, vcc
	v_add_co_u32_e32 v19, vcc, s3, v0
	v_addc_co_u32_e64 v20, s[0:1], 0, 0, vcc
	v_add_co_u32_e32 v21, vcc, s2, v0
	v_lshlrev_b32_e32 v3, 3, v21
	s_mov_b32 s33, 0
	v_addc_co_u32_e64 v22, s[0:1], 0, 0, vcc
	v_mov_b32_e32 v7, s7
	v_add_co_u32_e32 v6, vcc, s6, v3
	v_mov_b32_e32 v2, 0
	s_lshl_b32 s35, s2, 5
	s_mul_i32 s36, s2, 24
	s_mov_b32 s37, s33
	s_lshl_b32 s38, s2, 4
	s_mov_b32 s39, s33
	v_addc_co_u32_e32 v7, vcc, 0, v7, vcc
	s_mov_b64 s[24:25], 0
	s_branch .LBB51_4
.LBB51_3:                               ;   in Loop: Header=BB51_4 Depth=1
	s_or_b64 exec, exec, s[0:1]
	s_add_u32 s24, s24, s34
	s_addc_u32 s25, s25, 0
	v_pk_mov_b32 v[8:9], s[16:17], s[16:17] op_sel:[0,1]
	v_cmp_lt_i64_e32 vcc, s[24:25], v[8:9]
	v_mov_b32_e32 v8, 0x10000
	v_mov_b32_e32 v9, 0
	v_cmp_lt_u64_e64 s[0:1], s[24:25], v[8:9]
	s_and_b64 s[0:1], vcc, s[0:1]
	v_mov_b32_e32 v3, s33
	v_add_co_u32_e32 v4, vcc, s35, v4
	v_addc_co_u32_e32 v5, vcc, v5, v3, vcc
	v_add_co_u32_e32 v6, vcc, s35, v6
	v_addc_co_u32_e32 v7, vcc, v7, v3, vcc
	s_and_b64 vcc, exec, s[0:1]
	s_cbranch_vccz .LBB51_36
.LBB51_4:                               ; =>This Inner Loop Header: Depth=1
	v_mov_b32_e32 v3, s25
	v_add_co_u32_e32 v8, vcc, s24, v0
	v_addc_co_u32_e32 v9, vcc, 0, v3, vcc
	v_pk_mov_b32 v[14:15], 0, 0
	v_cmp_gt_u64_e64 s[8:9], s[22:23], v[8:9]
	v_pk_mov_b32 v[8:9], v[14:15], v[14:15] op_sel:[0,1]
	s_and_saveexec_b64 s[0:1], s[8:9]
	s_cbranch_execz .LBB51_6
; %bb.5:                                ;   in Loop: Header=BB51_4 Depth=1
	global_load_dwordx2 v[8:9], v[4:5], off
.LBB51_6:                               ;   in Loop: Header=BB51_4 Depth=1
	s_or_b64 exec, exec, s[0:1]
	v_mov_b32_e32 v3, s25
	v_add_co_u32_e32 v10, vcc, s24, v21
	v_addc_co_u32_e32 v11, vcc, v22, v3, vcc
	v_cmp_gt_u64_e64 s[0:1], s[22:23], v[10:11]
	s_and_saveexec_b64 s[2:3], s[0:1]
	s_cbranch_execz .LBB51_8
; %bb.7:                                ;   in Loop: Header=BB51_4 Depth=1
	global_load_dwordx2 v[14:15], v[6:7], off
.LBB51_8:                               ;   in Loop: Header=BB51_4 Depth=1
	s_or_b64 exec, exec, s[2:3]
	v_mov_b32_e32 v3, s25
	v_add_co_u32_e32 v10, vcc, s24, v19
	v_addc_co_u32_e32 v11, vcc, v20, v3, vcc
	v_pk_mov_b32 v[12:13], 0, 0
	v_cmp_gt_u64_e64 s[2:3], s[22:23], v[10:11]
	v_pk_mov_b32 v[16:17], v[12:13], v[12:13] op_sel:[0,1]
	s_and_saveexec_b64 s[6:7], s[2:3]
	s_cbranch_execz .LBB51_10
; %bb.9:                                ;   in Loop: Header=BB51_4 Depth=1
	v_mov_b32_e32 v3, s39
	v_add_co_u32_e32 v10, vcc, s38, v4
	v_addc_co_u32_e32 v11, vcc, v5, v3, vcc
	global_load_dwordx2 v[16:17], v[10:11], off
.LBB51_10:                              ;   in Loop: Header=BB51_4 Depth=1
	s_or_b64 exec, exec, s[6:7]
	v_mov_b32_e32 v3, s25
	v_add_co_u32_e32 v10, vcc, s24, v1
	v_addc_co_u32_e32 v11, vcc, v18, v3, vcc
	v_cmp_gt_u64_e64 s[6:7], s[22:23], v[10:11]
	s_and_saveexec_b64 s[10:11], s[6:7]
	s_cbranch_execz .LBB51_12
; %bb.11:                               ;   in Loop: Header=BB51_4 Depth=1
	v_mov_b32_e32 v3, s37
	v_add_co_u32_e32 v10, vcc, s36, v4
	v_addc_co_u32_e32 v11, vcc, v5, v3, vcc
	global_load_dwordx2 v[12:13], v[10:11], off
.LBB51_12:                              ;   in Loop: Header=BB51_4 Depth=1
	s_or_b64 exec, exec, s[10:11]
	global_load_dwordx2 v[10:11], v2, s[12:13]
	s_waitcnt vmcnt(0)
	v_readfirstlane_b32 s11, v10
	v_readfirstlane_b32 s10, v11
	s_mul_i32 s26, s11, s15
	s_mul_hi_u32 s27, s11, s14
	s_mul_i32 s10, s10, s14
	s_add_i32 s26, s27, s26
	s_add_i32 s41, s26, s10
	v_or_b32_e32 v3, s41, v15
	s_mul_i32 s40, s11, s14
	v_cmp_ne_u64_e32 vcc, 0, v[2:3]
                                        ; implicit-def: $vgpr10_vgpr11
	s_and_saveexec_b64 s[10:11], vcc
	s_xor_b64 s[26:27], exec, s[10:11]
	s_cbranch_execz .LBB51_14
; %bb.13:                               ;   in Loop: Header=BB51_4 Depth=1
	s_ashr_i32 s28, s41, 31
	s_add_u32 s10, s40, s28
	s_mov_b32 s29, s28
	s_addc_u32 s11, s41, s28
	s_xor_b64 s[30:31], s[10:11], s[28:29]
	v_cvt_f32_u32_e32 v3, s30
	v_cvt_f32_u32_e32 v10, s31
	s_sub_u32 s10, 0, s30
	s_subb_u32 s11, 0, s31
	v_mac_f32_e32 v3, 0x4f800000, v10
	v_rcp_f32_e32 v3, v3
	v_mul_f32_e32 v3, 0x5f7ffffc, v3
	v_mul_f32_e32 v10, 0x2f800000, v3
	v_trunc_f32_e32 v10, v10
	v_mac_f32_e32 v3, 0xcf800000, v10
	v_cvt_u32_f32_e32 v10, v10
	v_cvt_u32_f32_e32 v3, v3
	v_mul_lo_u32 v11, s10, v10
	v_mul_hi_u32 v24, s10, v3
	v_mul_lo_u32 v23, s11, v3
	v_add_u32_e32 v11, v24, v11
	v_mul_lo_u32 v25, s10, v3
	v_add_u32_e32 v11, v11, v23
	v_mul_lo_u32 v24, v3, v11
	v_mul_hi_u32 v26, v3, v25
	v_mul_hi_u32 v23, v3, v11
	v_add_co_u32_e32 v24, vcc, v26, v24
	v_addc_co_u32_e32 v23, vcc, 0, v23, vcc
	v_mul_hi_u32 v27, v10, v25
	v_mul_lo_u32 v25, v10, v25
	v_add_co_u32_e32 v24, vcc, v24, v25
	v_mul_hi_u32 v26, v10, v11
	v_addc_co_u32_e32 v23, vcc, v23, v27, vcc
	v_addc_co_u32_e32 v24, vcc, 0, v26, vcc
	v_mul_lo_u32 v11, v10, v11
	v_add_co_u32_e32 v11, vcc, v23, v11
	v_addc_co_u32_e32 v23, vcc, 0, v24, vcc
	v_add_co_u32_e32 v3, vcc, v3, v11
	v_addc_co_u32_e32 v10, vcc, v10, v23, vcc
	v_mul_lo_u32 v11, s10, v10
	v_mul_hi_u32 v23, s10, v3
	v_add_u32_e32 v11, v23, v11
	v_mul_lo_u32 v23, s11, v3
	v_add_u32_e32 v11, v11, v23
	v_mul_lo_u32 v24, s10, v3
	v_mul_hi_u32 v25, v10, v24
	v_mul_lo_u32 v26, v10, v24
	v_mul_lo_u32 v28, v3, v11
	v_mul_hi_u32 v24, v3, v24
	v_mul_hi_u32 v27, v3, v11
	v_add_co_u32_e32 v24, vcc, v24, v28
	v_addc_co_u32_e32 v27, vcc, 0, v27, vcc
	v_add_co_u32_e32 v24, vcc, v24, v26
	v_mul_hi_u32 v23, v10, v11
	v_addc_co_u32_e32 v24, vcc, v27, v25, vcc
	v_addc_co_u32_e32 v23, vcc, 0, v23, vcc
	v_mul_lo_u32 v11, v10, v11
	v_add_co_u32_e32 v11, vcc, v24, v11
	v_addc_co_u32_e32 v23, vcc, 0, v23, vcc
	v_add_co_u32_e32 v3, vcc, v3, v11
	v_addc_co_u32_e32 v23, vcc, v10, v23, vcc
	v_ashrrev_i32_e32 v24, 31, v15
	v_add_co_u32_e32 v10, vcc, v14, v24
	v_addc_co_u32_e32 v11, vcc, v15, v24, vcc
	v_xor_b32_e32 v26, v10, v24
	v_xor_b32_e32 v25, v11, v24
	v_mad_u64_u32 v[10:11], s[10:11], v26, v23, 0
	v_mul_hi_u32 v14, v26, v3
	v_add_co_u32_e32 v27, vcc, v14, v10
	v_addc_co_u32_e32 v28, vcc, 0, v11, vcc
	v_mad_u64_u32 v[14:15], s[10:11], v25, v3, 0
	v_add_co_u32_e32 v3, vcc, v27, v14
	v_mad_u64_u32 v[10:11], s[10:11], v25, v23, 0
	v_addc_co_u32_e32 v3, vcc, v28, v15, vcc
	v_addc_co_u32_e32 v11, vcc, 0, v11, vcc
	v_add_co_u32_e32 v3, vcc, v3, v10
	v_addc_co_u32_e32 v14, vcc, 0, v11, vcc
	v_mul_lo_u32 v15, s31, v3
	v_mul_lo_u32 v23, s30, v14
	v_mad_u64_u32 v[10:11], s[10:11], s30, v3, 0
	v_add3_u32 v11, v11, v23, v15
	v_sub_u32_e32 v15, v25, v11
	v_mov_b32_e32 v23, s31
	v_sub_co_u32_e32 v10, vcc, v26, v10
	v_subb_co_u32_e64 v15, s[10:11], v15, v23, vcc
	v_subrev_co_u32_e64 v23, s[10:11], s30, v10
	v_subbrev_co_u32_e64 v15, s[10:11], 0, v15, s[10:11]
	v_cmp_le_u32_e64 s[10:11], s31, v15
	v_cndmask_b32_e64 v26, 0, -1, s[10:11]
	v_cmp_le_u32_e64 s[10:11], s30, v23
	v_cndmask_b32_e64 v23, 0, -1, s[10:11]
	v_cmp_eq_u32_e64 s[10:11], s31, v15
	v_cndmask_b32_e64 v15, v26, v23, s[10:11]
	v_add_co_u32_e64 v23, s[10:11], 2, v3
	v_subb_co_u32_e32 v11, vcc, v25, v11, vcc
	v_addc_co_u32_e64 v26, s[10:11], 0, v14, s[10:11]
	v_cmp_le_u32_e32 vcc, s31, v11
	v_add_co_u32_e64 v27, s[10:11], 1, v3
	v_cndmask_b32_e64 v25, 0, -1, vcc
	v_cmp_le_u32_e32 vcc, s30, v10
	v_addc_co_u32_e64 v28, s[10:11], 0, v14, s[10:11]
	v_cndmask_b32_e64 v10, 0, -1, vcc
	v_cmp_eq_u32_e32 vcc, s31, v11
	v_cmp_ne_u32_e64 s[10:11], 0, v15
	v_cndmask_b32_e32 v10, v25, v10, vcc
	v_cmp_ne_u32_e32 vcc, 0, v10
	v_cndmask_b32_e64 v11, v27, v23, s[10:11]
	v_cndmask_b32_e64 v15, v28, v26, s[10:11]
	v_cndmask_b32_e32 v3, v3, v11, vcc
	v_xor_b32_e32 v11, s28, v24
	v_cndmask_b32_e32 v10, v14, v15, vcc
	v_xor_b32_e32 v3, v3, v11
	v_xor_b32_e32 v14, v10, v11
	v_sub_co_u32_e32 v10, vcc, v3, v11
	v_subb_co_u32_e32 v11, vcc, v14, v11, vcc
                                        ; implicit-def: $vgpr14_vgpr15
.LBB51_14:                              ;   in Loop: Header=BB51_4 Depth=1
	s_andn2_saveexec_b64 s[10:11], s[26:27]
	s_cbranch_execz .LBB51_16
; %bb.15:                               ;   in Loop: Header=BB51_4 Depth=1
	v_cvt_f32_u32_e32 v3, s40
	s_sub_i32 s26, 0, s40
	v_rcp_iflag_f32_e32 v3, v3
	v_mul_f32_e32 v3, 0x4f7ffffe, v3
	v_cvt_u32_f32_e32 v3, v3
	v_mul_lo_u32 v10, s26, v3
	v_mul_hi_u32 v10, v3, v10
	v_add_u32_e32 v3, v3, v10
	v_mul_hi_u32 v3, v14, v3
	v_mul_lo_u32 v10, v3, s40
	v_sub_u32_e32 v10, v14, v10
	v_add_u32_e32 v11, 1, v3
	v_subrev_u32_e32 v14, s40, v10
	v_cmp_le_u32_e32 vcc, s40, v10
	v_cndmask_b32_e32 v10, v10, v14, vcc
	v_cndmask_b32_e32 v3, v3, v11, vcc
	v_add_u32_e32 v11, 1, v3
	v_cmp_le_u32_e32 vcc, s40, v10
	v_cndmask_b32_e32 v10, v3, v11, vcc
	v_mov_b32_e32 v11, v2
.LBB51_16:                              ;   in Loop: Header=BB51_4 Depth=1
	s_or_b64 exec, exec, s[10:11]
	v_or_b32_e32 v3, s41, v17
	v_cmp_ne_u64_e32 vcc, 0, v[2:3]
                                        ; implicit-def: $vgpr14_vgpr15
	s_and_saveexec_b64 s[10:11], vcc
	s_xor_b64 s[26:27], exec, s[10:11]
	s_cbranch_execz .LBB51_18
; %bb.17:                               ;   in Loop: Header=BB51_4 Depth=1
	s_ashr_i32 s28, s41, 31
	s_add_u32 s10, s40, s28
	s_mov_b32 s29, s28
	s_addc_u32 s11, s41, s28
	s_xor_b64 s[30:31], s[10:11], s[28:29]
	v_cvt_f32_u32_e32 v3, s30
	v_cvt_f32_u32_e32 v14, s31
	s_sub_u32 s10, 0, s30
	s_subb_u32 s11, 0, s31
	v_mac_f32_e32 v3, 0x4f800000, v14
	v_rcp_f32_e32 v3, v3
	v_mul_f32_e32 v3, 0x5f7ffffc, v3
	v_mul_f32_e32 v14, 0x2f800000, v3
	v_trunc_f32_e32 v14, v14
	v_mac_f32_e32 v3, 0xcf800000, v14
	v_cvt_u32_f32_e32 v14, v14
	v_cvt_u32_f32_e32 v3, v3
	v_mul_lo_u32 v15, s10, v14
	v_mul_hi_u32 v24, s10, v3
	v_mul_lo_u32 v23, s11, v3
	v_add_u32_e32 v15, v24, v15
	v_mul_lo_u32 v25, s10, v3
	v_add_u32_e32 v15, v15, v23
	v_mul_lo_u32 v24, v3, v15
	v_mul_hi_u32 v26, v3, v25
	v_mul_hi_u32 v23, v3, v15
	v_add_co_u32_e32 v24, vcc, v26, v24
	v_addc_co_u32_e32 v23, vcc, 0, v23, vcc
	v_mul_hi_u32 v27, v14, v25
	v_mul_lo_u32 v25, v14, v25
	v_add_co_u32_e32 v24, vcc, v24, v25
	v_mul_hi_u32 v26, v14, v15
	v_addc_co_u32_e32 v23, vcc, v23, v27, vcc
	v_addc_co_u32_e32 v24, vcc, 0, v26, vcc
	v_mul_lo_u32 v15, v14, v15
	v_add_co_u32_e32 v15, vcc, v23, v15
	v_addc_co_u32_e32 v23, vcc, 0, v24, vcc
	v_add_co_u32_e32 v3, vcc, v3, v15
	v_addc_co_u32_e32 v14, vcc, v14, v23, vcc
	v_mul_lo_u32 v15, s10, v14
	v_mul_hi_u32 v23, s10, v3
	v_add_u32_e32 v15, v23, v15
	v_mul_lo_u32 v23, s11, v3
	v_add_u32_e32 v15, v15, v23
	v_mul_lo_u32 v24, s10, v3
	v_mul_hi_u32 v25, v14, v24
	v_mul_lo_u32 v26, v14, v24
	v_mul_lo_u32 v28, v3, v15
	v_mul_hi_u32 v24, v3, v24
	v_mul_hi_u32 v27, v3, v15
	v_add_co_u32_e32 v24, vcc, v24, v28
	v_addc_co_u32_e32 v27, vcc, 0, v27, vcc
	v_add_co_u32_e32 v24, vcc, v24, v26
	v_mul_hi_u32 v23, v14, v15
	v_addc_co_u32_e32 v24, vcc, v27, v25, vcc
	v_addc_co_u32_e32 v23, vcc, 0, v23, vcc
	v_mul_lo_u32 v15, v14, v15
	v_add_co_u32_e32 v15, vcc, v24, v15
	v_addc_co_u32_e32 v23, vcc, 0, v23, vcc
	v_add_co_u32_e32 v3, vcc, v3, v15
	v_addc_co_u32_e32 v23, vcc, v14, v23, vcc
	v_ashrrev_i32_e32 v24, 31, v17
	v_add_co_u32_e32 v14, vcc, v16, v24
	v_addc_co_u32_e32 v15, vcc, v17, v24, vcc
	v_xor_b32_e32 v26, v14, v24
	v_xor_b32_e32 v25, v15, v24
	v_mad_u64_u32 v[14:15], s[10:11], v26, v23, 0
	v_mul_hi_u32 v16, v26, v3
	v_add_co_u32_e32 v27, vcc, v16, v14
	v_addc_co_u32_e32 v28, vcc, 0, v15, vcc
	v_mad_u64_u32 v[16:17], s[10:11], v25, v3, 0
	v_add_co_u32_e32 v3, vcc, v27, v16
	v_mad_u64_u32 v[14:15], s[10:11], v25, v23, 0
	v_addc_co_u32_e32 v3, vcc, v28, v17, vcc
	v_addc_co_u32_e32 v15, vcc, 0, v15, vcc
	v_add_co_u32_e32 v3, vcc, v3, v14
	v_addc_co_u32_e32 v16, vcc, 0, v15, vcc
	v_mul_lo_u32 v17, s31, v3
	v_mul_lo_u32 v23, s30, v16
	v_mad_u64_u32 v[14:15], s[10:11], s30, v3, 0
	v_add3_u32 v15, v15, v23, v17
	v_sub_u32_e32 v17, v25, v15
	v_mov_b32_e32 v23, s31
	v_sub_co_u32_e32 v14, vcc, v26, v14
	v_subb_co_u32_e64 v17, s[10:11], v17, v23, vcc
	v_subrev_co_u32_e64 v23, s[10:11], s30, v14
	v_subbrev_co_u32_e64 v17, s[10:11], 0, v17, s[10:11]
	v_cmp_le_u32_e64 s[10:11], s31, v17
	v_cndmask_b32_e64 v26, 0, -1, s[10:11]
	v_cmp_le_u32_e64 s[10:11], s30, v23
	v_cndmask_b32_e64 v23, 0, -1, s[10:11]
	v_cmp_eq_u32_e64 s[10:11], s31, v17
	v_cndmask_b32_e64 v17, v26, v23, s[10:11]
	v_add_co_u32_e64 v23, s[10:11], 2, v3
	v_subb_co_u32_e32 v15, vcc, v25, v15, vcc
	v_addc_co_u32_e64 v26, s[10:11], 0, v16, s[10:11]
	v_cmp_le_u32_e32 vcc, s31, v15
	v_add_co_u32_e64 v27, s[10:11], 1, v3
	v_cndmask_b32_e64 v25, 0, -1, vcc
	v_cmp_le_u32_e32 vcc, s30, v14
	v_addc_co_u32_e64 v28, s[10:11], 0, v16, s[10:11]
	v_cndmask_b32_e64 v14, 0, -1, vcc
	v_cmp_eq_u32_e32 vcc, s31, v15
	v_cmp_ne_u32_e64 s[10:11], 0, v17
	v_cndmask_b32_e32 v14, v25, v14, vcc
	v_cmp_ne_u32_e32 vcc, 0, v14
	v_cndmask_b32_e64 v15, v27, v23, s[10:11]
	v_cndmask_b32_e64 v17, v28, v26, s[10:11]
	v_cndmask_b32_e32 v3, v3, v15, vcc
	v_xor_b32_e32 v15, s28, v24
	v_cndmask_b32_e32 v14, v16, v17, vcc
	v_xor_b32_e32 v3, v3, v15
	v_xor_b32_e32 v16, v14, v15
	v_sub_co_u32_e32 v14, vcc, v3, v15
	v_subb_co_u32_e32 v15, vcc, v16, v15, vcc
                                        ; implicit-def: $vgpr16_vgpr17
.LBB51_18:                              ;   in Loop: Header=BB51_4 Depth=1
	s_andn2_saveexec_b64 s[10:11], s[26:27]
	s_cbranch_execz .LBB51_20
; %bb.19:                               ;   in Loop: Header=BB51_4 Depth=1
	v_cvt_f32_u32_e32 v3, s40
	s_sub_i32 s26, 0, s40
	v_rcp_iflag_f32_e32 v3, v3
	v_mul_f32_e32 v3, 0x4f7ffffe, v3
	v_cvt_u32_f32_e32 v3, v3
	v_mul_lo_u32 v14, s26, v3
	v_mul_hi_u32 v14, v3, v14
	v_add_u32_e32 v3, v3, v14
	v_mul_hi_u32 v3, v16, v3
	v_mul_lo_u32 v14, v3, s40
	v_sub_u32_e32 v14, v16, v14
	v_add_u32_e32 v15, 1, v3
	v_subrev_u32_e32 v16, s40, v14
	v_cmp_le_u32_e32 vcc, s40, v14
	v_cndmask_b32_e32 v14, v14, v16, vcc
	v_cndmask_b32_e32 v3, v3, v15, vcc
	v_add_u32_e32 v15, 1, v3
	v_cmp_le_u32_e32 vcc, s40, v14
	v_cndmask_b32_e32 v14, v3, v15, vcc
	v_mov_b32_e32 v15, v2
.LBB51_20:                              ;   in Loop: Header=BB51_4 Depth=1
	s_or_b64 exec, exec, s[10:11]
	v_or_b32_e32 v3, s41, v13
	v_cmp_ne_u64_e32 vcc, 0, v[2:3]
                                        ; implicit-def: $vgpr16_vgpr17
	s_and_saveexec_b64 s[10:11], vcc
	s_xor_b64 s[26:27], exec, s[10:11]
	s_cbranch_execnz .LBB51_26
; %bb.21:                               ;   in Loop: Header=BB51_4 Depth=1
	s_andn2_saveexec_b64 s[10:11], s[26:27]
	s_cbranch_execnz .LBB51_27
.LBB51_22:                              ;   in Loop: Header=BB51_4 Depth=1
	s_or_b64 exec, exec, s[10:11]
	s_and_saveexec_b64 s[10:11], s[8:9]
	s_cbranch_execnz .LBB51_28
.LBB51_23:                              ;   in Loop: Header=BB51_4 Depth=1
	s_or_b64 exec, exec, s[10:11]
	s_and_saveexec_b64 s[8:9], s[0:1]
	s_cbranch_execnz .LBB51_33
.LBB51_24:                              ;   in Loop: Header=BB51_4 Depth=1
	s_or_b64 exec, exec, s[8:9]
	s_and_saveexec_b64 s[0:1], s[2:3]
	s_cbranch_execnz .LBB51_34
.LBB51_25:                              ;   in Loop: Header=BB51_4 Depth=1
	s_or_b64 exec, exec, s[0:1]
	s_and_saveexec_b64 s[0:1], s[6:7]
	s_cbranch_execz .LBB51_3
	s_branch .LBB51_35
.LBB51_26:                              ;   in Loop: Header=BB51_4 Depth=1
	s_ashr_i32 s28, s41, 31
	s_add_u32 s10, s40, s28
	s_mov_b32 s29, s28
	s_addc_u32 s11, s41, s28
	s_xor_b64 s[30:31], s[10:11], s[28:29]
	v_cvt_f32_u32_e32 v3, s30
	v_cvt_f32_u32_e32 v16, s31
	s_sub_u32 s10, 0, s30
	s_subb_u32 s11, 0, s31
	v_mac_f32_e32 v3, 0x4f800000, v16
	v_rcp_f32_e32 v3, v3
	v_mul_f32_e32 v3, 0x5f7ffffc, v3
	v_mul_f32_e32 v16, 0x2f800000, v3
	v_trunc_f32_e32 v16, v16
	v_mac_f32_e32 v3, 0xcf800000, v16
	v_cvt_u32_f32_e32 v16, v16
	v_cvt_u32_f32_e32 v3, v3
	v_mul_lo_u32 v17, s10, v16
	v_mul_hi_u32 v24, s10, v3
	v_mul_lo_u32 v23, s11, v3
	v_add_u32_e32 v17, v24, v17
	v_mul_lo_u32 v25, s10, v3
	v_add_u32_e32 v17, v17, v23
	v_mul_lo_u32 v24, v3, v17
	v_mul_hi_u32 v26, v3, v25
	v_mul_hi_u32 v23, v3, v17
	v_add_co_u32_e32 v24, vcc, v26, v24
	v_addc_co_u32_e32 v23, vcc, 0, v23, vcc
	v_mul_hi_u32 v27, v16, v25
	v_mul_lo_u32 v25, v16, v25
	v_add_co_u32_e32 v24, vcc, v24, v25
	v_mul_hi_u32 v26, v16, v17
	v_addc_co_u32_e32 v23, vcc, v23, v27, vcc
	v_addc_co_u32_e32 v24, vcc, 0, v26, vcc
	v_mul_lo_u32 v17, v16, v17
	v_add_co_u32_e32 v17, vcc, v23, v17
	v_addc_co_u32_e32 v23, vcc, 0, v24, vcc
	v_add_co_u32_e32 v3, vcc, v3, v17
	v_addc_co_u32_e32 v16, vcc, v16, v23, vcc
	v_mul_lo_u32 v17, s10, v16
	v_mul_hi_u32 v23, s10, v3
	v_add_u32_e32 v17, v23, v17
	v_mul_lo_u32 v23, s11, v3
	v_add_u32_e32 v17, v17, v23
	v_mul_lo_u32 v24, s10, v3
	v_mul_hi_u32 v25, v16, v24
	v_mul_lo_u32 v26, v16, v24
	v_mul_lo_u32 v28, v3, v17
	v_mul_hi_u32 v24, v3, v24
	v_mul_hi_u32 v27, v3, v17
	v_add_co_u32_e32 v24, vcc, v24, v28
	v_addc_co_u32_e32 v27, vcc, 0, v27, vcc
	v_add_co_u32_e32 v24, vcc, v24, v26
	v_mul_hi_u32 v23, v16, v17
	v_addc_co_u32_e32 v24, vcc, v27, v25, vcc
	v_addc_co_u32_e32 v23, vcc, 0, v23, vcc
	v_mul_lo_u32 v17, v16, v17
	v_add_co_u32_e32 v17, vcc, v24, v17
	v_addc_co_u32_e32 v23, vcc, 0, v23, vcc
	v_add_co_u32_e32 v3, vcc, v3, v17
	v_addc_co_u32_e32 v16, vcc, v16, v23, vcc
	v_ashrrev_i32_e32 v23, 31, v13
	v_add_co_u32_e32 v12, vcc, v12, v23
	v_addc_co_u32_e32 v13, vcc, v13, v23, vcc
	v_xor_b32_e32 v25, v12, v23
	v_xor_b32_e32 v24, v13, v23
	v_mad_u64_u32 v[12:13], s[10:11], v25, v16, 0
	v_mul_hi_u32 v17, v25, v3
	v_add_co_u32_e32 v26, vcc, v17, v12
	v_addc_co_u32_e32 v27, vcc, 0, v13, vcc
	v_mad_u64_u32 v[12:13], s[10:11], v24, v16, 0
	v_mad_u64_u32 v[16:17], s[10:11], v24, v3, 0
	v_add_co_u32_e32 v3, vcc, v26, v16
	v_addc_co_u32_e32 v3, vcc, v27, v17, vcc
	v_addc_co_u32_e32 v13, vcc, 0, v13, vcc
	v_add_co_u32_e32 v3, vcc, v3, v12
	v_addc_co_u32_e32 v16, vcc, 0, v13, vcc
	v_mul_lo_u32 v17, s31, v3
	v_mul_lo_u32 v26, s30, v16
	v_mad_u64_u32 v[12:13], s[10:11], s30, v3, 0
	v_add3_u32 v13, v13, v26, v17
	v_sub_u32_e32 v17, v24, v13
	v_mov_b32_e32 v26, s31
	v_sub_co_u32_e32 v12, vcc, v25, v12
	v_subb_co_u32_e64 v17, s[10:11], v17, v26, vcc
	v_subrev_co_u32_e64 v25, s[10:11], s30, v12
	v_subbrev_co_u32_e64 v17, s[10:11], 0, v17, s[10:11]
	v_cmp_le_u32_e64 s[10:11], s31, v17
	v_cndmask_b32_e64 v26, 0, -1, s[10:11]
	v_cmp_le_u32_e64 s[10:11], s30, v25
	v_cndmask_b32_e64 v25, 0, -1, s[10:11]
	v_cmp_eq_u32_e64 s[10:11], s31, v17
	v_cndmask_b32_e64 v17, v26, v25, s[10:11]
	v_add_co_u32_e64 v25, s[10:11], 2, v3
	v_subb_co_u32_e32 v13, vcc, v24, v13, vcc
	v_addc_co_u32_e64 v26, s[10:11], 0, v16, s[10:11]
	v_cmp_le_u32_e32 vcc, s31, v13
	v_add_co_u32_e64 v27, s[10:11], 1, v3
	v_cndmask_b32_e64 v24, 0, -1, vcc
	v_cmp_le_u32_e32 vcc, s30, v12
	v_addc_co_u32_e64 v28, s[10:11], 0, v16, s[10:11]
	v_cndmask_b32_e64 v12, 0, -1, vcc
	v_cmp_eq_u32_e32 vcc, s31, v13
	v_cmp_ne_u32_e64 s[10:11], 0, v17
	v_cndmask_b32_e32 v12, v24, v12, vcc
	v_cmp_ne_u32_e32 vcc, 0, v12
	v_cndmask_b32_e64 v13, v27, v25, s[10:11]
	v_cndmask_b32_e64 v17, v28, v26, s[10:11]
	v_cndmask_b32_e32 v3, v3, v13, vcc
	v_xor_b32_e32 v13, s28, v23
	v_cndmask_b32_e32 v12, v16, v17, vcc
	v_xor_b32_e32 v3, v3, v13
	v_xor_b32_e32 v12, v12, v13
	v_sub_co_u32_e32 v16, vcc, v3, v13
	v_subb_co_u32_e32 v17, vcc, v12, v13, vcc
                                        ; implicit-def: $vgpr12_vgpr13
	s_andn2_saveexec_b64 s[10:11], s[26:27]
	s_cbranch_execz .LBB51_22
.LBB51_27:                              ;   in Loop: Header=BB51_4 Depth=1
	v_cvt_f32_u32_e32 v3, s40
	s_sub_i32 s26, 0, s40
	v_mov_b32_e32 v17, v2
	v_rcp_iflag_f32_e32 v3, v3
	v_mul_f32_e32 v3, 0x4f7ffffe, v3
	v_cvt_u32_f32_e32 v3, v3
	v_mul_lo_u32 v13, s26, v3
	v_mul_hi_u32 v13, v3, v13
	v_add_u32_e32 v3, v3, v13
	v_mul_hi_u32 v3, v12, v3
	v_mul_lo_u32 v13, v3, s40
	v_sub_u32_e32 v12, v12, v13
	v_add_u32_e32 v16, 1, v3
	v_subrev_u32_e32 v13, s40, v12
	v_cmp_le_u32_e32 vcc, s40, v12
	v_cndmask_b32_e32 v12, v12, v13, vcc
	v_cndmask_b32_e32 v3, v3, v16, vcc
	v_add_u32_e32 v13, 1, v3
	v_cmp_le_u32_e32 vcc, s40, v12
	v_cndmask_b32_e32 v16, v3, v13, vcc
	s_or_b64 exec, exec, s[10:11]
	s_and_saveexec_b64 s[10:11], s[8:9]
	s_cbranch_execz .LBB51_23
.LBB51_28:                              ;   in Loop: Header=BB51_4 Depth=1
	v_or_b32_e32 v3, s41, v9
	v_cmp_ne_u64_e32 vcc, 0, v[2:3]
                                        ; implicit-def: $vgpr12_vgpr13
	s_and_saveexec_b64 s[8:9], vcc
	s_xor_b64 s[26:27], exec, s[8:9]
	s_cbranch_execz .LBB51_30
; %bb.29:                               ;   in Loop: Header=BB51_4 Depth=1
	s_ashr_i32 s28, s41, 31
	s_add_u32 s8, s40, s28
	s_mov_b32 s29, s28
	s_addc_u32 s9, s41, s28
	s_xor_b64 s[30:31], s[8:9], s[28:29]
	v_cvt_f32_u32_e32 v3, s30
	v_cvt_f32_u32_e32 v12, s31
	s_sub_u32 s8, 0, s30
	s_subb_u32 s9, 0, s31
	v_mac_f32_e32 v3, 0x4f800000, v12
	v_rcp_f32_e32 v3, v3
	v_mul_f32_e32 v3, 0x5f7ffffc, v3
	v_mul_f32_e32 v12, 0x2f800000, v3
	v_trunc_f32_e32 v12, v12
	v_mac_f32_e32 v3, 0xcf800000, v12
	v_cvt_u32_f32_e32 v12, v12
	v_cvt_u32_f32_e32 v3, v3
	v_mul_lo_u32 v13, s8, v12
	v_mul_hi_u32 v24, s8, v3
	v_mul_lo_u32 v23, s9, v3
	v_add_u32_e32 v13, v24, v13
	v_mul_lo_u32 v25, s8, v3
	v_add_u32_e32 v13, v13, v23
	v_mul_lo_u32 v24, v3, v13
	v_mul_hi_u32 v26, v3, v25
	v_mul_hi_u32 v23, v3, v13
	v_add_co_u32_e32 v24, vcc, v26, v24
	v_addc_co_u32_e32 v23, vcc, 0, v23, vcc
	v_mul_hi_u32 v27, v12, v25
	v_mul_lo_u32 v25, v12, v25
	v_add_co_u32_e32 v24, vcc, v24, v25
	v_mul_hi_u32 v26, v12, v13
	v_addc_co_u32_e32 v23, vcc, v23, v27, vcc
	v_addc_co_u32_e32 v24, vcc, 0, v26, vcc
	v_mul_lo_u32 v13, v12, v13
	v_add_co_u32_e32 v13, vcc, v23, v13
	v_addc_co_u32_e32 v23, vcc, 0, v24, vcc
	v_add_co_u32_e32 v3, vcc, v3, v13
	v_addc_co_u32_e32 v12, vcc, v12, v23, vcc
	v_mul_lo_u32 v13, s8, v12
	v_mul_hi_u32 v23, s8, v3
	v_add_u32_e32 v13, v23, v13
	v_mul_lo_u32 v23, s9, v3
	v_add_u32_e32 v13, v13, v23
	v_mul_lo_u32 v24, s8, v3
	v_mul_hi_u32 v25, v12, v24
	v_mul_lo_u32 v26, v12, v24
	v_mul_lo_u32 v28, v3, v13
	v_mul_hi_u32 v24, v3, v24
	v_mul_hi_u32 v27, v3, v13
	v_add_co_u32_e32 v24, vcc, v24, v28
	v_addc_co_u32_e32 v27, vcc, 0, v27, vcc
	v_add_co_u32_e32 v24, vcc, v24, v26
	v_mul_hi_u32 v23, v12, v13
	v_addc_co_u32_e32 v24, vcc, v27, v25, vcc
	v_addc_co_u32_e32 v23, vcc, 0, v23, vcc
	v_mul_lo_u32 v13, v12, v13
	v_add_co_u32_e32 v13, vcc, v24, v13
	v_addc_co_u32_e32 v23, vcc, 0, v23, vcc
	v_add_co_u32_e32 v3, vcc, v3, v13
	v_addc_co_u32_e32 v12, vcc, v12, v23, vcc
	v_ashrrev_i32_e32 v23, 31, v9
	v_add_co_u32_e32 v8, vcc, v8, v23
	v_addc_co_u32_e32 v9, vcc, v9, v23, vcc
	v_xor_b32_e32 v25, v8, v23
	v_xor_b32_e32 v24, v9, v23
	v_mad_u64_u32 v[8:9], s[8:9], v25, v12, 0
	v_mul_hi_u32 v13, v25, v3
	v_add_co_u32_e32 v26, vcc, v13, v8
	v_addc_co_u32_e32 v27, vcc, 0, v9, vcc
	v_mad_u64_u32 v[8:9], s[8:9], v24, v12, 0
	v_mad_u64_u32 v[12:13], s[8:9], v24, v3, 0
	v_add_co_u32_e32 v3, vcc, v26, v12
	v_addc_co_u32_e32 v3, vcc, v27, v13, vcc
	v_addc_co_u32_e32 v9, vcc, 0, v9, vcc
	v_add_co_u32_e32 v3, vcc, v3, v8
	v_addc_co_u32_e32 v12, vcc, 0, v9, vcc
	v_mul_lo_u32 v13, s31, v3
	v_mul_lo_u32 v26, s30, v12
	v_mad_u64_u32 v[8:9], s[8:9], s30, v3, 0
	v_add3_u32 v9, v9, v26, v13
	v_sub_u32_e32 v13, v24, v9
	v_mov_b32_e32 v26, s31
	v_sub_co_u32_e32 v8, vcc, v25, v8
	v_subb_co_u32_e64 v13, s[8:9], v13, v26, vcc
	v_subrev_co_u32_e64 v25, s[8:9], s30, v8
	v_subbrev_co_u32_e64 v13, s[8:9], 0, v13, s[8:9]
	v_cmp_le_u32_e64 s[8:9], s31, v13
	v_cndmask_b32_e64 v26, 0, -1, s[8:9]
	v_cmp_le_u32_e64 s[8:9], s30, v25
	v_cndmask_b32_e64 v25, 0, -1, s[8:9]
	v_cmp_eq_u32_e64 s[8:9], s31, v13
	v_cndmask_b32_e64 v13, v26, v25, s[8:9]
	v_add_co_u32_e64 v25, s[8:9], 2, v3
	v_subb_co_u32_e32 v9, vcc, v24, v9, vcc
	v_addc_co_u32_e64 v26, s[8:9], 0, v12, s[8:9]
	v_cmp_le_u32_e32 vcc, s31, v9
	v_add_co_u32_e64 v27, s[8:9], 1, v3
	v_cndmask_b32_e64 v24, 0, -1, vcc
	v_cmp_le_u32_e32 vcc, s30, v8
	v_addc_co_u32_e64 v28, s[8:9], 0, v12, s[8:9]
	v_cndmask_b32_e64 v8, 0, -1, vcc
	v_cmp_eq_u32_e32 vcc, s31, v9
	v_cmp_ne_u32_e64 s[8:9], 0, v13
	v_cndmask_b32_e32 v8, v24, v8, vcc
	v_cmp_ne_u32_e32 vcc, 0, v8
	v_cndmask_b32_e64 v9, v27, v25, s[8:9]
	v_cndmask_b32_e64 v13, v28, v26, s[8:9]
	v_cndmask_b32_e32 v3, v3, v9, vcc
	v_xor_b32_e32 v9, s28, v23
	v_cndmask_b32_e32 v8, v12, v13, vcc
	v_xor_b32_e32 v3, v3, v9
	v_xor_b32_e32 v8, v8, v9
	v_sub_co_u32_e32 v12, vcc, v3, v9
	v_subb_co_u32_e32 v13, vcc, v8, v9, vcc
                                        ; implicit-def: $vgpr8_vgpr9
.LBB51_30:                              ;   in Loop: Header=BB51_4 Depth=1
	s_andn2_saveexec_b64 s[8:9], s[26:27]
	s_cbranch_execz .LBB51_32
; %bb.31:                               ;   in Loop: Header=BB51_4 Depth=1
	v_cvt_f32_u32_e32 v3, s40
	s_sub_i32 s26, 0, s40
	v_mov_b32_e32 v13, v2
	v_rcp_iflag_f32_e32 v3, v3
	v_mul_f32_e32 v3, 0x4f7ffffe, v3
	v_cvt_u32_f32_e32 v3, v3
	v_mul_lo_u32 v9, s26, v3
	v_mul_hi_u32 v9, v3, v9
	v_add_u32_e32 v3, v3, v9
	v_mul_hi_u32 v3, v8, v3
	v_mul_lo_u32 v9, v3, s40
	v_sub_u32_e32 v8, v8, v9
	v_add_u32_e32 v12, 1, v3
	v_subrev_u32_e32 v9, s40, v8
	v_cmp_le_u32_e32 vcc, s40, v8
	v_cndmask_b32_e32 v8, v8, v9, vcc
	v_cndmask_b32_e32 v3, v3, v12, vcc
	v_add_u32_e32 v9, 1, v3
	v_cmp_le_u32_e32 vcc, s40, v8
	v_cndmask_b32_e32 v12, v3, v9, vcc
.LBB51_32:                              ;   in Loop: Header=BB51_4 Depth=1
	s_or_b64 exec, exec, s[8:9]
	global_store_dwordx2 v[4:5], v[12:13], off
	s_or_b64 exec, exec, s[10:11]
	s_and_saveexec_b64 s[8:9], s[0:1]
	s_cbranch_execz .LBB51_24
.LBB51_33:                              ;   in Loop: Header=BB51_4 Depth=1
	global_store_dwordx2 v[6:7], v[10:11], off
	s_or_b64 exec, exec, s[8:9]
	s_and_saveexec_b64 s[0:1], s[2:3]
	s_cbranch_execz .LBB51_25
.LBB51_34:                              ;   in Loop: Header=BB51_4 Depth=1
	v_mov_b32_e32 v3, s39
	v_add_co_u32_e32 v8, vcc, s38, v4
	v_addc_co_u32_e32 v9, vcc, v5, v3, vcc
	global_store_dwordx2 v[8:9], v[14:15], off
	s_or_b64 exec, exec, s[0:1]
	s_and_saveexec_b64 s[0:1], s[6:7]
	s_cbranch_execz .LBB51_3
.LBB51_35:                              ;   in Loop: Header=BB51_4 Depth=1
	v_mov_b32_e32 v3, s37
	v_add_co_u32_e32 v8, vcc, s36, v4
	v_addc_co_u32_e32 v9, vcc, v5, v3, vcc
	global_store_dwordx2 v[8:9], v[16:17], off
	s_branch .LBB51_3
.LBB51_36:
	s_cbranch_execz .LBB51_38
	s_branch .LBB51_57
.LBB51_37:
.LBB51_38:
	v_mov_b32_e32 v12, 0
	v_lshlrev_b32_e32 v2, 2, v0
	v_mov_b32_e32 v3, v12
	s_mov_b32 s22, 0
	v_cmp_gt_i64_e32 vcc, s[16:17], v[2:3]
	s_and_saveexec_b64 s[0:1], vcc
	s_cbranch_execz .LBB51_57
; %bb.39:
	s_load_dword s0, s[4:5], 0xd4c
	v_lshlrev_b32_e32 v1, 5, v0
	v_mov_b32_e32 v15, v12
	s_mov_b64 s[4:5], 0xffff
	s_waitcnt lgkmcnt(0)
	s_and_b32 s0, s0, 0xffff
	s_lshl_b32 s23, s0, 2
	s_add_u32 s1, s18, s20
	s_addc_u32 s2, s19, s21
	v_add_lshl_u32 v14, v0, s0, 2
	v_mov_b32_e32 v0, s2
	v_add_co_u32_e32 v1, vcc, s1, v1
	v_addc_co_u32_e32 v0, vcc, 0, v0, vcc
	v_add_co_u32_e32 v16, vcc, 16, v1
	v_addc_co_u32_e32 v17, vcc, 0, v0, vcc
	s_lshl_b32 s18, s0, 5
	s_mov_b32 s19, s22
	s_mov_b64 s[2:3], 0
	s_branch .LBB51_41
.LBB51_40:                              ;   in Loop: Header=BB51_41 Depth=1
	s_or_b64 exec, exec, s[0:1]
	v_cmp_le_i64_e32 vcc, s[16:17], v[14:15]
	v_cmp_lt_u64_e64 s[0:1], s[4:5], v[14:15]
	s_or_b64 s[0:1], vcc, s[0:1]
	v_mov_b32_e32 v0, s22
	v_add_co_u32_e32 v14, vcc, s23, v14
	v_addc_co_u32_e32 v15, vcc, v15, v0, vcc
	global_store_dwordx4 v[16:17], v[4:7], off offset:-16
	global_store_dwordx4 v[16:17], v[8:11], off
	v_mov_b32_e32 v0, s19
	s_and_b64 s[0:1], exec, s[0:1]
	v_add_co_u32_e32 v16, vcc, s18, v16
	s_or_b64 s[2:3], s[0:1], s[2:3]
	v_addc_co_u32_e32 v17, vcc, v17, v0, vcc
	s_andn2_b64 exec, exec, s[2:3]
	s_cbranch_execz .LBB51_57
.LBB51_41:                              ; =>This Inner Loop Header: Depth=1
	global_load_dwordx2 v[4:5], v12, s[12:13]
	global_load_dwordx4 v[6:9], v[16:17], off offset:-16
	global_load_dwordx4 v[0:3], v[16:17], off
	s_waitcnt vmcnt(2)
	v_readfirstlane_b32 s1, v4
	v_readfirstlane_b32 s0, v5
	s_mul_i32 s6, s1, s15
	s_mul_hi_u32 s7, s1, s14
	s_mul_i32 s0, s0, s14
	s_add_i32 s6, s7, s6
	s_add_i32 s21, s6, s0
	s_waitcnt vmcnt(1)
	v_or_b32_e32 v13, s21, v7
	s_mul_i32 s20, s1, s14
	v_cmp_ne_u64_e32 vcc, 0, v[12:13]
                                        ; implicit-def: $vgpr4_vgpr5
	s_and_saveexec_b64 s[0:1], vcc
	s_xor_b64 s[6:7], exec, s[0:1]
	s_cbranch_execz .LBB51_43
; %bb.42:                               ;   in Loop: Header=BB51_41 Depth=1
	s_ashr_i32 s8, s21, 31
	s_add_u32 s0, s20, s8
	s_mov_b32 s9, s8
	s_addc_u32 s1, s21, s8
	s_xor_b64 s[10:11], s[0:1], s[8:9]
	v_cvt_f32_u32_e32 v4, s10
	v_cvt_f32_u32_e32 v5, s11
	s_sub_u32 s0, 0, s10
	s_subb_u32 s1, 0, s11
	v_mac_f32_e32 v4, 0x4f800000, v5
	v_rcp_f32_e32 v4, v4
	v_mul_f32_e32 v4, 0x5f7ffffc, v4
	v_mul_f32_e32 v5, 0x2f800000, v4
	v_trunc_f32_e32 v5, v5
	v_mac_f32_e32 v4, 0xcf800000, v5
	v_cvt_u32_f32_e32 v5, v5
	v_cvt_u32_f32_e32 v4, v4
	v_mul_lo_u32 v10, s0, v5
	v_mul_hi_u32 v13, s0, v4
	v_mul_lo_u32 v11, s1, v4
	v_add_u32_e32 v10, v13, v10
	v_mul_lo_u32 v18, s0, v4
	v_add_u32_e32 v10, v10, v11
	v_mul_lo_u32 v13, v4, v10
	v_mul_hi_u32 v19, v4, v18
	v_mul_hi_u32 v11, v4, v10
	v_add_co_u32_e32 v13, vcc, v19, v13
	v_addc_co_u32_e32 v11, vcc, 0, v11, vcc
	v_mul_hi_u32 v20, v5, v18
	v_mul_lo_u32 v18, v5, v18
	v_add_co_u32_e32 v13, vcc, v13, v18
	v_mul_hi_u32 v19, v5, v10
	v_addc_co_u32_e32 v11, vcc, v11, v20, vcc
	v_addc_co_u32_e32 v13, vcc, 0, v19, vcc
	v_mul_lo_u32 v10, v5, v10
	v_add_co_u32_e32 v10, vcc, v11, v10
	v_addc_co_u32_e32 v11, vcc, 0, v13, vcc
	v_add_co_u32_e32 v4, vcc, v4, v10
	v_addc_co_u32_e32 v5, vcc, v5, v11, vcc
	v_mul_lo_u32 v10, s0, v5
	v_mul_hi_u32 v11, s0, v4
	v_add_u32_e32 v10, v11, v10
	v_mul_lo_u32 v11, s1, v4
	v_add_u32_e32 v10, v10, v11
	v_mul_lo_u32 v13, s0, v4
	v_mul_hi_u32 v18, v5, v13
	v_mul_lo_u32 v19, v5, v13
	v_mul_lo_u32 v21, v4, v10
	v_mul_hi_u32 v13, v4, v13
	v_mul_hi_u32 v20, v4, v10
	v_add_co_u32_e32 v13, vcc, v13, v21
	v_addc_co_u32_e32 v20, vcc, 0, v20, vcc
	v_add_co_u32_e32 v13, vcc, v13, v19
	v_mul_hi_u32 v11, v5, v10
	v_addc_co_u32_e32 v13, vcc, v20, v18, vcc
	v_addc_co_u32_e32 v11, vcc, 0, v11, vcc
	v_mul_lo_u32 v10, v5, v10
	v_add_co_u32_e32 v10, vcc, v13, v10
	v_addc_co_u32_e32 v11, vcc, 0, v11, vcc
	v_add_co_u32_e32 v10, vcc, v4, v10
	v_addc_co_u32_e32 v11, vcc, v5, v11, vcc
	v_ashrrev_i32_e32 v13, 31, v7
	v_add_co_u32_e32 v4, vcc, v6, v13
	v_addc_co_u32_e32 v5, vcc, v7, v13, vcc
	v_xor_b32_e32 v19, v4, v13
	v_xor_b32_e32 v18, v5, v13
	v_mad_u64_u32 v[4:5], s[0:1], v19, v11, 0
	v_mul_hi_u32 v6, v19, v10
	v_add_co_u32_e32 v20, vcc, v6, v4
	v_addc_co_u32_e32 v21, vcc, 0, v5, vcc
	v_mad_u64_u32 v[6:7], s[0:1], v18, v10, 0
	v_add_co_u32_e32 v6, vcc, v20, v6
	v_mad_u64_u32 v[4:5], s[0:1], v18, v11, 0
	v_addc_co_u32_e32 v6, vcc, v21, v7, vcc
	v_addc_co_u32_e32 v5, vcc, 0, v5, vcc
	v_add_co_u32_e32 v6, vcc, v6, v4
	v_addc_co_u32_e32 v7, vcc, 0, v5, vcc
	v_mul_lo_u32 v10, s11, v6
	v_mul_lo_u32 v11, s10, v7
	v_mad_u64_u32 v[4:5], s[0:1], s10, v6, 0
	v_add3_u32 v5, v5, v11, v10
	v_sub_u32_e32 v10, v18, v5
	v_mov_b32_e32 v11, s11
	v_sub_co_u32_e32 v4, vcc, v19, v4
	v_subb_co_u32_e64 v10, s[0:1], v10, v11, vcc
	v_subrev_co_u32_e64 v11, s[0:1], s10, v4
	v_subbrev_co_u32_e64 v10, s[0:1], 0, v10, s[0:1]
	v_cmp_le_u32_e64 s[0:1], s11, v10
	v_cndmask_b32_e64 v19, 0, -1, s[0:1]
	v_cmp_le_u32_e64 s[0:1], s10, v11
	v_cndmask_b32_e64 v11, 0, -1, s[0:1]
	v_cmp_eq_u32_e64 s[0:1], s11, v10
	v_cndmask_b32_e64 v10, v19, v11, s[0:1]
	v_add_co_u32_e64 v11, s[0:1], 2, v6
	v_subb_co_u32_e32 v5, vcc, v18, v5, vcc
	v_addc_co_u32_e64 v19, s[0:1], 0, v7, s[0:1]
	v_cmp_le_u32_e32 vcc, s11, v5
	v_add_co_u32_e64 v20, s[0:1], 1, v6
	v_cndmask_b32_e64 v18, 0, -1, vcc
	v_cmp_le_u32_e32 vcc, s10, v4
	v_addc_co_u32_e64 v21, s[0:1], 0, v7, s[0:1]
	v_cndmask_b32_e64 v4, 0, -1, vcc
	v_cmp_eq_u32_e32 vcc, s11, v5
	v_cmp_ne_u32_e64 s[0:1], 0, v10
	v_cndmask_b32_e32 v4, v18, v4, vcc
	v_cndmask_b32_e64 v10, v21, v19, s[0:1]
	v_cmp_ne_u32_e32 vcc, 0, v4
	v_cndmask_b32_e64 v5, v20, v11, s[0:1]
	v_cndmask_b32_e32 v4, v7, v10, vcc
	v_cndmask_b32_e32 v5, v6, v5, vcc
	v_xor_b32_e32 v6, s8, v13
	v_xor_b32_e32 v7, v4, v6
	;; [unrolled: 1-line block ×3, first 2 shown]
	v_sub_co_u32_e32 v4, vcc, v4, v6
	v_subb_co_u32_e32 v5, vcc, v7, v6, vcc
.LBB51_43:                              ;   in Loop: Header=BB51_41 Depth=1
	s_andn2_saveexec_b64 s[0:1], s[6:7]
	s_cbranch_execz .LBB51_45
; %bb.44:                               ;   in Loop: Header=BB51_41 Depth=1
	v_cvt_f32_u32_e32 v4, s20
	s_sub_i32 s6, 0, s20
	v_rcp_iflag_f32_e32 v4, v4
	v_mul_f32_e32 v4, 0x4f7ffffe, v4
	v_cvt_u32_f32_e32 v4, v4
	v_mul_lo_u32 v5, s6, v4
	v_mul_hi_u32 v5, v4, v5
	v_add_u32_e32 v4, v4, v5
	v_mul_hi_u32 v4, v6, v4
	v_mul_lo_u32 v5, v4, s20
	v_sub_u32_e32 v5, v6, v5
	v_add_u32_e32 v7, 1, v4
	v_subrev_u32_e32 v6, s20, v5
	v_cmp_le_u32_e32 vcc, s20, v5
	v_cndmask_b32_e32 v5, v5, v6, vcc
	v_cndmask_b32_e32 v4, v4, v7, vcc
	v_add_u32_e32 v6, 1, v4
	v_cmp_le_u32_e32 vcc, s20, v5
	v_cndmask_b32_e32 v4, v4, v6, vcc
	v_mov_b32_e32 v5, v12
.LBB51_45:                              ;   in Loop: Header=BB51_41 Depth=1
	s_or_b64 exec, exec, s[0:1]
	v_or_b32_e32 v13, s21, v9
	v_cmp_ne_u64_e32 vcc, 0, v[12:13]
	s_and_saveexec_b64 s[0:1], vcc
	s_xor_b64 s[6:7], exec, s[0:1]
	s_cbranch_execz .LBB51_47
; %bb.46:                               ;   in Loop: Header=BB51_41 Depth=1
	s_ashr_i32 s8, s21, 31
	s_add_u32 s0, s20, s8
	s_mov_b32 s9, s8
	s_addc_u32 s1, s21, s8
	s_xor_b64 s[10:11], s[0:1], s[8:9]
	v_cvt_f32_u32_e32 v6, s10
	v_cvt_f32_u32_e32 v7, s11
	s_sub_u32 s0, 0, s10
	s_subb_u32 s1, 0, s11
	v_mac_f32_e32 v6, 0x4f800000, v7
	v_rcp_f32_e32 v6, v6
	v_mul_f32_e32 v6, 0x5f7ffffc, v6
	v_mul_f32_e32 v7, 0x2f800000, v6
	v_trunc_f32_e32 v7, v7
	v_mac_f32_e32 v6, 0xcf800000, v7
	v_cvt_u32_f32_e32 v7, v7
	v_cvt_u32_f32_e32 v6, v6
	v_mul_lo_u32 v10, s0, v7
	v_mul_hi_u32 v13, s0, v6
	v_mul_lo_u32 v11, s1, v6
	v_add_u32_e32 v10, v13, v10
	v_mul_lo_u32 v18, s0, v6
	v_add_u32_e32 v10, v10, v11
	v_mul_lo_u32 v13, v6, v10
	v_mul_hi_u32 v19, v6, v18
	v_mul_hi_u32 v11, v6, v10
	v_add_co_u32_e32 v13, vcc, v19, v13
	v_addc_co_u32_e32 v11, vcc, 0, v11, vcc
	v_mul_hi_u32 v20, v7, v18
	v_mul_lo_u32 v18, v7, v18
	v_add_co_u32_e32 v13, vcc, v13, v18
	v_mul_hi_u32 v19, v7, v10
	v_addc_co_u32_e32 v11, vcc, v11, v20, vcc
	v_addc_co_u32_e32 v13, vcc, 0, v19, vcc
	v_mul_lo_u32 v10, v7, v10
	v_add_co_u32_e32 v10, vcc, v11, v10
	v_addc_co_u32_e32 v11, vcc, 0, v13, vcc
	v_add_co_u32_e32 v6, vcc, v6, v10
	v_addc_co_u32_e32 v7, vcc, v7, v11, vcc
	v_mul_lo_u32 v10, s0, v7
	v_mul_hi_u32 v11, s0, v6
	v_add_u32_e32 v10, v11, v10
	v_mul_lo_u32 v11, s1, v6
	v_add_u32_e32 v10, v10, v11
	v_mul_lo_u32 v13, s0, v6
	v_mul_hi_u32 v18, v7, v13
	v_mul_lo_u32 v19, v7, v13
	v_mul_lo_u32 v21, v6, v10
	v_mul_hi_u32 v13, v6, v13
	v_mul_hi_u32 v20, v6, v10
	v_add_co_u32_e32 v13, vcc, v13, v21
	v_addc_co_u32_e32 v20, vcc, 0, v20, vcc
	v_add_co_u32_e32 v13, vcc, v13, v19
	v_mul_hi_u32 v11, v7, v10
	v_addc_co_u32_e32 v13, vcc, v20, v18, vcc
	v_addc_co_u32_e32 v11, vcc, 0, v11, vcc
	v_mul_lo_u32 v10, v7, v10
	v_add_co_u32_e32 v10, vcc, v13, v10
	v_addc_co_u32_e32 v11, vcc, 0, v11, vcc
	v_add_co_u32_e32 v10, vcc, v6, v10
	v_addc_co_u32_e32 v11, vcc, v7, v11, vcc
	v_ashrrev_i32_e32 v13, 31, v9
	v_add_co_u32_e32 v6, vcc, v8, v13
	v_addc_co_u32_e32 v7, vcc, v9, v13, vcc
	v_xor_b32_e32 v19, v6, v13
	v_xor_b32_e32 v18, v7, v13
	v_mad_u64_u32 v[6:7], s[0:1], v19, v11, 0
	v_mul_hi_u32 v8, v19, v10
	v_add_co_u32_e32 v20, vcc, v8, v6
	v_addc_co_u32_e32 v21, vcc, 0, v7, vcc
	v_mad_u64_u32 v[8:9], s[0:1], v18, v10, 0
	v_add_co_u32_e32 v8, vcc, v20, v8
	v_mad_u64_u32 v[6:7], s[0:1], v18, v11, 0
	v_addc_co_u32_e32 v8, vcc, v21, v9, vcc
	v_addc_co_u32_e32 v7, vcc, 0, v7, vcc
	v_add_co_u32_e32 v8, vcc, v8, v6
	v_addc_co_u32_e32 v9, vcc, 0, v7, vcc
	v_mul_lo_u32 v10, s11, v8
	v_mul_lo_u32 v11, s10, v9
	v_mad_u64_u32 v[6:7], s[0:1], s10, v8, 0
	v_add3_u32 v7, v7, v11, v10
	v_sub_u32_e32 v10, v18, v7
	v_mov_b32_e32 v11, s11
	v_sub_co_u32_e32 v6, vcc, v19, v6
	v_subb_co_u32_e64 v10, s[0:1], v10, v11, vcc
	v_subrev_co_u32_e64 v11, s[0:1], s10, v6
	v_subbrev_co_u32_e64 v10, s[0:1], 0, v10, s[0:1]
	v_cmp_le_u32_e64 s[0:1], s11, v10
	v_cndmask_b32_e64 v19, 0, -1, s[0:1]
	v_cmp_le_u32_e64 s[0:1], s10, v11
	v_cndmask_b32_e64 v11, 0, -1, s[0:1]
	v_cmp_eq_u32_e64 s[0:1], s11, v10
	v_cndmask_b32_e64 v10, v19, v11, s[0:1]
	v_add_co_u32_e64 v11, s[0:1], 2, v8
	v_subb_co_u32_e32 v7, vcc, v18, v7, vcc
	v_addc_co_u32_e64 v19, s[0:1], 0, v9, s[0:1]
	v_cmp_le_u32_e32 vcc, s11, v7
	v_add_co_u32_e64 v20, s[0:1], 1, v8
	v_cndmask_b32_e64 v18, 0, -1, vcc
	v_cmp_le_u32_e32 vcc, s10, v6
	v_addc_co_u32_e64 v21, s[0:1], 0, v9, s[0:1]
	v_cndmask_b32_e64 v6, 0, -1, vcc
	v_cmp_eq_u32_e32 vcc, s11, v7
	v_cmp_ne_u32_e64 s[0:1], 0, v10
	v_cndmask_b32_e32 v6, v18, v6, vcc
	v_cndmask_b32_e64 v10, v21, v19, s[0:1]
	v_cmp_ne_u32_e32 vcc, 0, v6
	v_cndmask_b32_e64 v7, v20, v11, s[0:1]
	v_cndmask_b32_e32 v6, v9, v10, vcc
	v_cndmask_b32_e32 v7, v8, v7, vcc
	v_xor_b32_e32 v8, s8, v13
	v_xor_b32_e32 v9, v6, v8
	;; [unrolled: 1-line block ×3, first 2 shown]
	v_sub_co_u32_e32 v6, vcc, v6, v8
	v_subb_co_u32_e32 v7, vcc, v9, v8, vcc
                                        ; implicit-def: $vgpr8_vgpr9
.LBB51_47:                              ;   in Loop: Header=BB51_41 Depth=1
	s_andn2_saveexec_b64 s[0:1], s[6:7]
	s_cbranch_execz .LBB51_49
; %bb.48:                               ;   in Loop: Header=BB51_41 Depth=1
	v_cvt_f32_u32_e32 v6, s20
	s_sub_i32 s6, 0, s20
	v_rcp_iflag_f32_e32 v6, v6
	v_mul_f32_e32 v6, 0x4f7ffffe, v6
	v_cvt_u32_f32_e32 v6, v6
	v_mul_lo_u32 v7, s6, v6
	v_mul_hi_u32 v7, v6, v7
	v_add_u32_e32 v6, v6, v7
	v_mul_hi_u32 v6, v8, v6
	v_mul_lo_u32 v7, v6, s20
	v_sub_u32_e32 v7, v8, v7
	v_add_u32_e32 v9, 1, v6
	v_subrev_u32_e32 v8, s20, v7
	v_cmp_le_u32_e32 vcc, s20, v7
	v_cndmask_b32_e32 v7, v7, v8, vcc
	v_cndmask_b32_e32 v6, v6, v9, vcc
	v_add_u32_e32 v8, 1, v6
	v_cmp_le_u32_e32 vcc, s20, v7
	v_cndmask_b32_e32 v6, v6, v8, vcc
	v_mov_b32_e32 v7, v12
.LBB51_49:                              ;   in Loop: Header=BB51_41 Depth=1
	s_or_b64 exec, exec, s[0:1]
	s_waitcnt vmcnt(0)
	v_or_b32_e32 v13, s21, v1
	v_cmp_ne_u64_e32 vcc, 0, v[12:13]
                                        ; implicit-def: $vgpr8_vgpr9
	s_and_saveexec_b64 s[0:1], vcc
	s_xor_b64 s[6:7], exec, s[0:1]
	s_cbranch_execz .LBB51_51
; %bb.50:                               ;   in Loop: Header=BB51_41 Depth=1
	s_ashr_i32 s8, s21, 31
	s_add_u32 s0, s20, s8
	s_mov_b32 s9, s8
	s_addc_u32 s1, s21, s8
	s_xor_b64 s[10:11], s[0:1], s[8:9]
	v_cvt_f32_u32_e32 v8, s10
	v_cvt_f32_u32_e32 v9, s11
	s_sub_u32 s0, 0, s10
	s_subb_u32 s1, 0, s11
	v_mac_f32_e32 v8, 0x4f800000, v9
	v_rcp_f32_e32 v8, v8
	v_mul_f32_e32 v8, 0x5f7ffffc, v8
	v_mul_f32_e32 v9, 0x2f800000, v8
	v_trunc_f32_e32 v9, v9
	v_mac_f32_e32 v8, 0xcf800000, v9
	v_cvt_u32_f32_e32 v9, v9
	v_cvt_u32_f32_e32 v8, v8
	v_mul_lo_u32 v10, s0, v9
	v_mul_hi_u32 v13, s0, v8
	v_mul_lo_u32 v11, s1, v8
	v_add_u32_e32 v10, v13, v10
	v_mul_lo_u32 v18, s0, v8
	v_add_u32_e32 v10, v10, v11
	v_mul_lo_u32 v13, v8, v10
	v_mul_hi_u32 v19, v8, v18
	v_mul_hi_u32 v11, v8, v10
	v_add_co_u32_e32 v13, vcc, v19, v13
	v_addc_co_u32_e32 v11, vcc, 0, v11, vcc
	v_mul_hi_u32 v20, v9, v18
	v_mul_lo_u32 v18, v9, v18
	v_add_co_u32_e32 v13, vcc, v13, v18
	v_mul_hi_u32 v19, v9, v10
	v_addc_co_u32_e32 v11, vcc, v11, v20, vcc
	v_addc_co_u32_e32 v13, vcc, 0, v19, vcc
	v_mul_lo_u32 v10, v9, v10
	v_add_co_u32_e32 v10, vcc, v11, v10
	v_addc_co_u32_e32 v11, vcc, 0, v13, vcc
	v_add_co_u32_e32 v8, vcc, v8, v10
	v_addc_co_u32_e32 v9, vcc, v9, v11, vcc
	v_mul_lo_u32 v10, s0, v9
	v_mul_hi_u32 v11, s0, v8
	v_add_u32_e32 v10, v11, v10
	v_mul_lo_u32 v11, s1, v8
	v_add_u32_e32 v10, v10, v11
	v_mul_lo_u32 v13, s0, v8
	v_mul_hi_u32 v18, v9, v13
	v_mul_lo_u32 v19, v9, v13
	v_mul_lo_u32 v21, v8, v10
	v_mul_hi_u32 v13, v8, v13
	v_mul_hi_u32 v20, v8, v10
	v_add_co_u32_e32 v13, vcc, v13, v21
	v_addc_co_u32_e32 v20, vcc, 0, v20, vcc
	v_add_co_u32_e32 v13, vcc, v13, v19
	v_mul_hi_u32 v11, v9, v10
	v_addc_co_u32_e32 v13, vcc, v20, v18, vcc
	v_addc_co_u32_e32 v11, vcc, 0, v11, vcc
	v_mul_lo_u32 v10, v9, v10
	v_add_co_u32_e32 v10, vcc, v13, v10
	v_addc_co_u32_e32 v11, vcc, 0, v11, vcc
	v_add_co_u32_e32 v8, vcc, v8, v10
	v_addc_co_u32_e32 v9, vcc, v9, v11, vcc
	v_ashrrev_i32_e32 v10, 31, v1
	v_add_co_u32_e32 v0, vcc, v0, v10
	v_addc_co_u32_e32 v1, vcc, v1, v10, vcc
	v_xor_b32_e32 v13, v0, v10
	v_xor_b32_e32 v11, v1, v10
	v_mad_u64_u32 v[0:1], s[0:1], v13, v9, 0
	v_mul_hi_u32 v18, v13, v8
	v_add_co_u32_e32 v18, vcc, v18, v0
	v_addc_co_u32_e32 v19, vcc, 0, v1, vcc
	v_mad_u64_u32 v[0:1], s[0:1], v11, v9, 0
	v_mad_u64_u32 v[8:9], s[0:1], v11, v8, 0
	v_add_co_u32_e32 v8, vcc, v18, v8
	v_addc_co_u32_e32 v8, vcc, v19, v9, vcc
	v_addc_co_u32_e32 v1, vcc, 0, v1, vcc
	v_add_co_u32_e32 v8, vcc, v8, v0
	v_addc_co_u32_e32 v9, vcc, 0, v1, vcc
	v_mul_lo_u32 v18, s11, v8
	v_mul_lo_u32 v19, s10, v9
	v_mad_u64_u32 v[0:1], s[0:1], s10, v8, 0
	v_add3_u32 v1, v1, v19, v18
	v_sub_u32_e32 v18, v11, v1
	v_mov_b32_e32 v19, s11
	v_sub_co_u32_e32 v0, vcc, v13, v0
	v_subb_co_u32_e64 v13, s[0:1], v18, v19, vcc
	v_subrev_co_u32_e64 v18, s[0:1], s10, v0
	v_subbrev_co_u32_e64 v13, s[0:1], 0, v13, s[0:1]
	v_cmp_le_u32_e64 s[0:1], s11, v13
	v_cndmask_b32_e64 v19, 0, -1, s[0:1]
	v_cmp_le_u32_e64 s[0:1], s10, v18
	v_cndmask_b32_e64 v18, 0, -1, s[0:1]
	v_cmp_eq_u32_e64 s[0:1], s11, v13
	v_cndmask_b32_e64 v13, v19, v18, s[0:1]
	v_add_co_u32_e64 v18, s[0:1], 2, v8
	v_subb_co_u32_e32 v1, vcc, v11, v1, vcc
	v_addc_co_u32_e64 v19, s[0:1], 0, v9, s[0:1]
	v_cmp_le_u32_e32 vcc, s11, v1
	v_add_co_u32_e64 v20, s[0:1], 1, v8
	v_cndmask_b32_e64 v11, 0, -1, vcc
	v_cmp_le_u32_e32 vcc, s10, v0
	v_addc_co_u32_e64 v21, s[0:1], 0, v9, s[0:1]
	v_cndmask_b32_e64 v0, 0, -1, vcc
	v_cmp_eq_u32_e32 vcc, s11, v1
	v_cmp_ne_u32_e64 s[0:1], 0, v13
	v_cndmask_b32_e32 v0, v11, v0, vcc
	v_cndmask_b32_e64 v13, v21, v19, s[0:1]
	v_cmp_ne_u32_e32 vcc, 0, v0
	v_cndmask_b32_e64 v1, v20, v18, s[0:1]
	v_cndmask_b32_e32 v0, v9, v13, vcc
	v_cndmask_b32_e32 v1, v8, v1, vcc
	v_xor_b32_e32 v9, s8, v10
	v_xor_b32_e32 v1, v1, v9
	;; [unrolled: 1-line block ×3, first 2 shown]
	v_sub_co_u32_e32 v8, vcc, v1, v9
	v_subb_co_u32_e32 v9, vcc, v0, v9, vcc
.LBB51_51:                              ;   in Loop: Header=BB51_41 Depth=1
	s_andn2_saveexec_b64 s[0:1], s[6:7]
	s_cbranch_execz .LBB51_53
; %bb.52:                               ;   in Loop: Header=BB51_41 Depth=1
	v_cvt_f32_u32_e32 v1, s20
	s_sub_i32 s6, 0, s20
	v_rcp_iflag_f32_e32 v1, v1
	v_mul_f32_e32 v1, 0x4f7ffffe, v1
	v_cvt_u32_f32_e32 v1, v1
	v_mul_lo_u32 v8, s6, v1
	v_mul_hi_u32 v8, v1, v8
	v_add_u32_e32 v1, v1, v8
	v_mul_hi_u32 v1, v0, v1
	v_mul_lo_u32 v8, v1, s20
	v_sub_u32_e32 v0, v0, v8
	v_add_u32_e32 v9, 1, v1
	v_subrev_u32_e32 v8, s20, v0
	v_cmp_le_u32_e32 vcc, s20, v0
	v_cndmask_b32_e32 v0, v0, v8, vcc
	v_cndmask_b32_e32 v1, v1, v9, vcc
	v_add_u32_e32 v8, 1, v1
	v_cmp_le_u32_e32 vcc, s20, v0
	v_cndmask_b32_e32 v8, v1, v8, vcc
	v_mov_b32_e32 v9, v12
.LBB51_53:                              ;   in Loop: Header=BB51_41 Depth=1
	s_or_b64 exec, exec, s[0:1]
	v_or_b32_e32 v13, s21, v3
	v_cmp_ne_u64_e32 vcc, 0, v[12:13]
	s_and_saveexec_b64 s[0:1], vcc
	s_xor_b64 s[6:7], exec, s[0:1]
	s_cbranch_execz .LBB51_55
; %bb.54:                               ;   in Loop: Header=BB51_41 Depth=1
	s_ashr_i32 s8, s21, 31
	s_add_u32 s0, s20, s8
	s_mov_b32 s9, s8
	s_addc_u32 s1, s21, s8
	s_xor_b64 s[10:11], s[0:1], s[8:9]
	v_cvt_f32_u32_e32 v0, s10
	v_cvt_f32_u32_e32 v1, s11
	s_sub_u32 s0, 0, s10
	s_subb_u32 s1, 0, s11
	v_mac_f32_e32 v0, 0x4f800000, v1
	v_rcp_f32_e32 v0, v0
	v_mul_f32_e32 v0, 0x5f7ffffc, v0
	v_mul_f32_e32 v1, 0x2f800000, v0
	v_trunc_f32_e32 v1, v1
	v_mac_f32_e32 v0, 0xcf800000, v1
	v_cvt_u32_f32_e32 v1, v1
	v_cvt_u32_f32_e32 v0, v0
	v_mul_lo_u32 v10, s0, v1
	v_mul_hi_u32 v13, s0, v0
	v_mul_lo_u32 v11, s1, v0
	v_add_u32_e32 v10, v13, v10
	v_mul_lo_u32 v18, s0, v0
	v_add_u32_e32 v10, v10, v11
	v_mul_lo_u32 v13, v0, v10
	v_mul_hi_u32 v19, v0, v18
	v_mul_hi_u32 v11, v0, v10
	v_add_co_u32_e32 v13, vcc, v19, v13
	v_addc_co_u32_e32 v11, vcc, 0, v11, vcc
	v_mul_hi_u32 v20, v1, v18
	v_mul_lo_u32 v18, v1, v18
	v_add_co_u32_e32 v13, vcc, v13, v18
	v_mul_hi_u32 v19, v1, v10
	v_addc_co_u32_e32 v11, vcc, v11, v20, vcc
	v_addc_co_u32_e32 v13, vcc, 0, v19, vcc
	v_mul_lo_u32 v10, v1, v10
	v_add_co_u32_e32 v10, vcc, v11, v10
	v_addc_co_u32_e32 v11, vcc, 0, v13, vcc
	v_add_co_u32_e32 v0, vcc, v0, v10
	v_addc_co_u32_e32 v1, vcc, v1, v11, vcc
	v_mul_lo_u32 v10, s0, v1
	v_mul_hi_u32 v11, s0, v0
	v_add_u32_e32 v10, v11, v10
	v_mul_lo_u32 v11, s1, v0
	v_add_u32_e32 v10, v10, v11
	v_mul_lo_u32 v13, s0, v0
	v_mul_hi_u32 v18, v1, v13
	v_mul_lo_u32 v19, v1, v13
	v_mul_lo_u32 v21, v0, v10
	v_mul_hi_u32 v13, v0, v13
	v_mul_hi_u32 v20, v0, v10
	v_add_co_u32_e32 v13, vcc, v13, v21
	v_addc_co_u32_e32 v20, vcc, 0, v20, vcc
	v_add_co_u32_e32 v13, vcc, v13, v19
	v_mul_hi_u32 v11, v1, v10
	v_addc_co_u32_e32 v13, vcc, v20, v18, vcc
	v_addc_co_u32_e32 v11, vcc, 0, v11, vcc
	v_mul_lo_u32 v10, v1, v10
	v_add_co_u32_e32 v10, vcc, v13, v10
	v_addc_co_u32_e32 v11, vcc, 0, v11, vcc
	v_add_co_u32_e32 v10, vcc, v0, v10
	v_addc_co_u32_e32 v11, vcc, v1, v11, vcc
	v_ashrrev_i32_e32 v13, 31, v3
	v_add_co_u32_e32 v0, vcc, v2, v13
	v_addc_co_u32_e32 v1, vcc, v3, v13, vcc
	v_xor_b32_e32 v19, v0, v13
	v_xor_b32_e32 v18, v1, v13
	v_mad_u64_u32 v[0:1], s[0:1], v19, v11, 0
	v_mul_hi_u32 v2, v19, v10
	v_add_co_u32_e32 v20, vcc, v2, v0
	v_addc_co_u32_e32 v21, vcc, 0, v1, vcc
	v_mad_u64_u32 v[2:3], s[0:1], v18, v10, 0
	v_add_co_u32_e32 v2, vcc, v20, v2
	v_mad_u64_u32 v[0:1], s[0:1], v18, v11, 0
	v_addc_co_u32_e32 v2, vcc, v21, v3, vcc
	v_addc_co_u32_e32 v1, vcc, 0, v1, vcc
	v_add_co_u32_e32 v2, vcc, v2, v0
	v_addc_co_u32_e32 v3, vcc, 0, v1, vcc
	v_mul_lo_u32 v10, s11, v2
	v_mul_lo_u32 v11, s10, v3
	v_mad_u64_u32 v[0:1], s[0:1], s10, v2, 0
	v_add3_u32 v1, v1, v11, v10
	v_sub_u32_e32 v10, v18, v1
	v_mov_b32_e32 v11, s11
	v_sub_co_u32_e32 v0, vcc, v19, v0
	v_subb_co_u32_e64 v10, s[0:1], v10, v11, vcc
	v_subrev_co_u32_e64 v11, s[0:1], s10, v0
	v_subbrev_co_u32_e64 v10, s[0:1], 0, v10, s[0:1]
	v_cmp_le_u32_e64 s[0:1], s11, v10
	v_cndmask_b32_e64 v19, 0, -1, s[0:1]
	v_cmp_le_u32_e64 s[0:1], s10, v11
	v_cndmask_b32_e64 v11, 0, -1, s[0:1]
	v_cmp_eq_u32_e64 s[0:1], s11, v10
	v_cndmask_b32_e64 v10, v19, v11, s[0:1]
	v_add_co_u32_e64 v11, s[0:1], 2, v2
	v_subb_co_u32_e32 v1, vcc, v18, v1, vcc
	v_addc_co_u32_e64 v19, s[0:1], 0, v3, s[0:1]
	v_cmp_le_u32_e32 vcc, s11, v1
	v_add_co_u32_e64 v20, s[0:1], 1, v2
	v_cndmask_b32_e64 v18, 0, -1, vcc
	v_cmp_le_u32_e32 vcc, s10, v0
	v_addc_co_u32_e64 v21, s[0:1], 0, v3, s[0:1]
	v_cndmask_b32_e64 v0, 0, -1, vcc
	v_cmp_eq_u32_e32 vcc, s11, v1
	v_cmp_ne_u32_e64 s[0:1], 0, v10
	v_cndmask_b32_e32 v0, v18, v0, vcc
	v_cmp_ne_u32_e32 vcc, 0, v0
	v_cndmask_b32_e64 v1, v20, v11, s[0:1]
	v_cndmask_b32_e64 v10, v21, v19, s[0:1]
	v_cndmask_b32_e32 v1, v2, v1, vcc
	v_xor_b32_e32 v2, s8, v13
	v_cndmask_b32_e32 v0, v3, v10, vcc
	v_xor_b32_e32 v1, v1, v2
	v_xor_b32_e32 v0, v0, v2
	v_sub_co_u32_e32 v10, vcc, v1, v2
	v_subb_co_u32_e32 v11, vcc, v0, v2, vcc
                                        ; implicit-def: $vgpr2_vgpr3
.LBB51_55:                              ;   in Loop: Header=BB51_41 Depth=1
	s_andn2_saveexec_b64 s[0:1], s[6:7]
	s_cbranch_execz .LBB51_40
; %bb.56:                               ;   in Loop: Header=BB51_41 Depth=1
	v_cvt_f32_u32_e32 v0, s20
	s_sub_i32 s6, 0, s20
	v_mov_b32_e32 v11, v12
	v_rcp_iflag_f32_e32 v0, v0
	v_mul_f32_e32 v0, 0x4f7ffffe, v0
	v_cvt_u32_f32_e32 v0, v0
	v_mul_lo_u32 v1, s6, v0
	v_mul_hi_u32 v1, v0, v1
	v_add_u32_e32 v0, v0, v1
	v_mul_hi_u32 v0, v2, v0
	v_mul_lo_u32 v1, v0, s20
	v_sub_u32_e32 v1, v2, v1
	v_add_u32_e32 v3, 1, v0
	v_subrev_u32_e32 v2, s20, v1
	v_cmp_le_u32_e32 vcc, s20, v1
	v_cndmask_b32_e32 v1, v1, v2, vcc
	v_cndmask_b32_e32 v0, v0, v3, vcc
	v_add_u32_e32 v2, 1, v0
	v_cmp_le_u32_e32 vcc, s20, v1
	v_cndmask_b32_e32 v10, v0, v2, vcc
	s_branch .LBB51_40
.LBB51_57:
	s_endpgm
	.section	.rodata,"a",@progbits
	.p2align	6, 0x0
	.amdhsa_kernel _ZN2at6native12_GLOBAL__N_125multi_tensor_apply_kernelINS1_18TensorListMetadataILi1EEENS1_27BinaryOpScalarTensorFunctorIlLi1ELi1ELi0EEEJSt7dividesIlEPllEEEvT_T0_DpT1_
		.amdhsa_group_segment_fixed_size 0
		.amdhsa_private_segment_fixed_size 0
		.amdhsa_kernarg_size 3648
		.amdhsa_user_sgpr_count 6
		.amdhsa_user_sgpr_private_segment_buffer 1
		.amdhsa_user_sgpr_dispatch_ptr 0
		.amdhsa_user_sgpr_queue_ptr 0
		.amdhsa_user_sgpr_kernarg_segment_ptr 1
		.amdhsa_user_sgpr_dispatch_id 0
		.amdhsa_user_sgpr_flat_scratch_init 0
		.amdhsa_user_sgpr_kernarg_preload_length 0
		.amdhsa_user_sgpr_kernarg_preload_offset 0
		.amdhsa_user_sgpr_private_segment_size 0
		.amdhsa_uses_dynamic_stack 0
		.amdhsa_system_sgpr_private_segment_wavefront_offset 0
		.amdhsa_system_sgpr_workgroup_id_x 1
		.amdhsa_system_sgpr_workgroup_id_y 0
		.amdhsa_system_sgpr_workgroup_id_z 0
		.amdhsa_system_sgpr_workgroup_info 0
		.amdhsa_system_vgpr_workitem_id 0
		.amdhsa_next_free_vgpr 29
		.amdhsa_next_free_sgpr 42
		.amdhsa_accum_offset 32
		.amdhsa_reserve_vcc 1
		.amdhsa_reserve_flat_scratch 0
		.amdhsa_float_round_mode_32 0
		.amdhsa_float_round_mode_16_64 0
		.amdhsa_float_denorm_mode_32 3
		.amdhsa_float_denorm_mode_16_64 3
		.amdhsa_dx10_clamp 1
		.amdhsa_ieee_mode 1
		.amdhsa_fp16_overflow 0
		.amdhsa_tg_split 0
		.amdhsa_exception_fp_ieee_invalid_op 0
		.amdhsa_exception_fp_denorm_src 0
		.amdhsa_exception_fp_ieee_div_zero 0
		.amdhsa_exception_fp_ieee_overflow 0
		.amdhsa_exception_fp_ieee_underflow 0
		.amdhsa_exception_fp_ieee_inexact 0
		.amdhsa_exception_int_div_zero 0
	.end_amdhsa_kernel
	.section	.text._ZN2at6native12_GLOBAL__N_125multi_tensor_apply_kernelINS1_18TensorListMetadataILi1EEENS1_27BinaryOpScalarTensorFunctorIlLi1ELi1ELi0EEEJSt7dividesIlEPllEEEvT_T0_DpT1_,"axG",@progbits,_ZN2at6native12_GLOBAL__N_125multi_tensor_apply_kernelINS1_18TensorListMetadataILi1EEENS1_27BinaryOpScalarTensorFunctorIlLi1ELi1ELi0EEEJSt7dividesIlEPllEEEvT_T0_DpT1_,comdat
.Lfunc_end51:
	.size	_ZN2at6native12_GLOBAL__N_125multi_tensor_apply_kernelINS1_18TensorListMetadataILi1EEENS1_27BinaryOpScalarTensorFunctorIlLi1ELi1ELi0EEEJSt7dividesIlEPllEEEvT_T0_DpT1_, .Lfunc_end51-_ZN2at6native12_GLOBAL__N_125multi_tensor_apply_kernelINS1_18TensorListMetadataILi1EEENS1_27BinaryOpScalarTensorFunctorIlLi1ELi1ELi0EEEJSt7dividesIlEPllEEEvT_T0_DpT1_
                                        ; -- End function
	.section	.AMDGPU.csdata,"",@progbits
; Kernel info:
; codeLenInByte = 7500
; NumSgprs: 46
; NumVgprs: 29
; NumAgprs: 0
; TotalNumVgprs: 29
; ScratchSize: 0
; MemoryBound: 1
; FloatMode: 240
; IeeeMode: 1
; LDSByteSize: 0 bytes/workgroup (compile time only)
; SGPRBlocks: 5
; VGPRBlocks: 3
; NumSGPRsForWavesPerEU: 46
; NumVGPRsForWavesPerEU: 29
; AccumOffset: 32
; Occupancy: 8
; WaveLimiterHint : 0
; COMPUTE_PGM_RSRC2:SCRATCH_EN: 0
; COMPUTE_PGM_RSRC2:USER_SGPR: 6
; COMPUTE_PGM_RSRC2:TRAP_HANDLER: 0
; COMPUTE_PGM_RSRC2:TGID_X_EN: 1
; COMPUTE_PGM_RSRC2:TGID_Y_EN: 0
; COMPUTE_PGM_RSRC2:TGID_Z_EN: 0
; COMPUTE_PGM_RSRC2:TIDIG_COMP_CNT: 0
; COMPUTE_PGM_RSRC3_GFX90A:ACCUM_OFFSET: 7
; COMPUTE_PGM_RSRC3_GFX90A:TG_SPLIT: 0
	.section	.text._ZN2at6native12_GLOBAL__N_125multi_tensor_apply_kernelINS1_18TensorListMetadataILi1EEENS1_27BinaryOpScalarTensorFunctorIsLi1ELi1ELi0EEEJSt7dividesIsEPssEEEvT_T0_DpT1_,"axG",@progbits,_ZN2at6native12_GLOBAL__N_125multi_tensor_apply_kernelINS1_18TensorListMetadataILi1EEENS1_27BinaryOpScalarTensorFunctorIsLi1ELi1ELi0EEEJSt7dividesIsEPssEEEvT_T0_DpT1_,comdat
	.globl	_ZN2at6native12_GLOBAL__N_125multi_tensor_apply_kernelINS1_18TensorListMetadataILi1EEENS1_27BinaryOpScalarTensorFunctorIsLi1ELi1ELi0EEEJSt7dividesIsEPssEEEvT_T0_DpT1_ ; -- Begin function _ZN2at6native12_GLOBAL__N_125multi_tensor_apply_kernelINS1_18TensorListMetadataILi1EEENS1_27BinaryOpScalarTensorFunctorIsLi1ELi1ELi0EEEJSt7dividesIsEPssEEEvT_T0_DpT1_
	.p2align	8
	.type	_ZN2at6native12_GLOBAL__N_125multi_tensor_apply_kernelINS1_18TensorListMetadataILi1EEENS1_27BinaryOpScalarTensorFunctorIsLi1ELi1ELi0EEEJSt7dividesIsEPssEEEvT_T0_DpT1_,@function
_ZN2at6native12_GLOBAL__N_125multi_tensor_apply_kernelINS1_18TensorListMetadataILi1EEENS1_27BinaryOpScalarTensorFunctorIsLi1ELi1ELi0EEEJSt7dividesIsEPssEEEvT_T0_DpT1_: ; @_ZN2at6native12_GLOBAL__N_125multi_tensor_apply_kernelINS1_18TensorListMetadataILi1EEENS1_27BinaryOpScalarTensorFunctorIsLi1ELi1ELi0EEEJSt7dividesIsEPssEEEvT_T0_DpT1_
; %bb.0:
	v_mov_b32_e32 v1, s6
	global_load_ubyte v1, v1, s[4:5] offset:1760
	s_add_u32 s0, s4, s6
	s_mul_hi_u32 s1, s6, 3
	s_mul_i32 s6, s6, 3
	s_addc_u32 s2, s5, 0
	s_add_u32 s0, s0, s6
	s_addc_u32 s1, s2, s1
	s_load_dword s0, s[0:1], 0x820
	s_mov_b32 s7, 0
	s_load_dword s24, s[4:5], 0xd38
	s_waitcnt vmcnt(0)
	v_readfirstlane_b32 s1, v1
	s_lshl_b32 s1, s1, 3
	s_load_dwordx2 s[10:11], s[4:5], 0xd30
	s_load_dwordx2 s[2:3], s[4:5], s1 offset:0x370
	s_load_dwordx2 s[14:15], s[4:5], s1 offset:0x0
	s_waitcnt lgkmcnt(0)
	s_ashr_i32 s1, s0, 31
	s_lshl_b64 s[16:17], s[0:1], 17
	s_lshl_b64 s[0:1], s[0:1], 16
	s_and_b32 s6, s14, 7
	s_sub_u32 s12, s2, s0
	s_subb_u32 s13, s3, s1
	s_and_b32 s0, s2, 3
	s_mov_b32 s1, s7
	s_or_b64 s[0:1], s[6:7], s[0:1]
	s_cmp_eq_u64 s[0:1], 0
	s_cbranch_scc1 .LBB52_21
; %bb.1:
	v_cmp_lt_i64_e64 s[0:1], s[12:13], 1
	s_and_b64 vcc, exec, s[0:1]
	s_cbranch_vccnz .LBB52_20
; %bb.2:
	s_load_dword s0, s[4:5], 0xd4c
	v_mov_b32_e32 v2, 0x10000
	v_mov_b32_e32 v3, 0
	v_cmp_lt_u64_e32 vcc, s[12:13], v[2:3]
	v_lshlrev_b32_e32 v2, 1, v0
	s_waitcnt lgkmcnt(0)
	s_and_b32 s2, s0, 0xffff
	s_and_b64 s[0:1], vcc, exec
	s_cselect_b32 s19, s13, 0
	s_cselect_b32 s18, s12, 0x10000
	s_lshl_b32 s3, s2, 1
	s_lshl_b32 s26, s2, 2
	s_and_b32 s27, 0xffff, s24
	s_add_u32 s6, s14, s16
	s_addc_u32 s7, s15, s17
	v_mov_b32_e32 v3, s7
	v_add_co_u32_e32 v2, vcc, s6, v2
	s_mul_i32 s0, s2, 3
	v_addc_co_u32_e32 v3, vcc, 0, v3, vcc
	v_add_co_u32_e32 v8, vcc, s0, v0
	v_addc_co_u32_e64 v9, s[0:1], 0, 0, vcc
	v_add_co_u32_e32 v10, vcc, s3, v0
	v_addc_co_u32_e64 v11, s[0:1], 0, 0, vcc
	v_add_co_u32_e32 v12, vcc, s2, v0
	v_lshlrev_b32_e32 v4, 1, v12
	s_mov_b32 s25, 0
	v_addc_co_u32_e64 v13, s[0:1], 0, 0, vcc
	v_mov_b32_e32 v5, s7
	v_add_co_u32_e32 v4, vcc, s6, v4
	v_mov_b32_e32 v1, 0
	s_lshl_b32 s28, s2, 3
	s_mul_i32 s29, s2, 6
	s_mov_b32 s30, s25
	v_addc_co_u32_e32 v5, vcc, 0, v5, vcc
	s_mov_b64 s[20:21], 0
	v_pk_mov_b32 v[6:7], s[12:13], s[12:13] op_sel:[0,1]
	v_mov_b32_e32 v14, s25
	s_branch .LBB52_4
.LBB52_3:                               ;   in Loop: Header=BB52_4 Depth=1
	s_or_b64 exec, exec, s[0:1]
	s_add_u32 s20, s20, s26
	v_mov_b32_e32 v16, 0x10000
	s_addc_u32 s21, s21, 0
	v_mov_b32_e32 v17, 0
	v_cmp_lt_i64_e32 vcc, s[20:21], v[6:7]
	v_cmp_lt_u64_e64 s[0:1], s[20:21], v[16:17]
	s_and_b64 s[0:1], vcc, s[0:1]
	v_add_co_u32_e32 v2, vcc, s28, v2
	v_addc_co_u32_e32 v3, vcc, v3, v14, vcc
	v_add_co_u32_e32 v4, vcc, s28, v4
	v_addc_co_u32_e32 v5, vcc, v5, v14, vcc
	s_and_b64 vcc, exec, s[0:1]
	s_cbranch_vccz .LBB52_20
.LBB52_4:                               ; =>This Inner Loop Header: Depth=1
	v_mov_b32_e32 v15, s21
	v_add_co_u32_e32 v16, vcc, s20, v0
	v_addc_co_u32_e32 v17, vcc, 0, v15, vcc
	v_cmp_gt_u64_e64 s[6:7], s[18:19], v[16:17]
	v_mov_b32_e32 v21, 0
	s_and_saveexec_b64 s[0:1], s[6:7]
	s_cbranch_execz .LBB52_6
; %bb.5:                                ;   in Loop: Header=BB52_4 Depth=1
	global_load_ushort v21, v[2:3], off
.LBB52_6:                               ;   in Loop: Header=BB52_4 Depth=1
	s_or_b64 exec, exec, s[0:1]
	v_mov_b32_e32 v15, s21
	v_add_co_u32_e32 v16, vcc, s20, v12
	v_addc_co_u32_e32 v17, vcc, v13, v15, vcc
	v_cmp_gt_u64_e64 s[2:3], s[18:19], v[16:17]
	v_mov_b32_e32 v15, 0
	v_mov_b32_e32 v18, 0
	s_and_saveexec_b64 s[0:1], s[2:3]
	s_cbranch_execz .LBB52_8
; %bb.7:                                ;   in Loop: Header=BB52_4 Depth=1
	global_load_ushort v18, v[4:5], off
.LBB52_8:                               ;   in Loop: Header=BB52_4 Depth=1
	s_or_b64 exec, exec, s[0:1]
	v_mov_b32_e32 v17, s21
	v_add_co_u32_e32 v16, vcc, s20, v10
	v_addc_co_u32_e32 v17, vcc, v11, v17, vcc
	v_cmp_gt_u64_e64 s[0:1], s[18:19], v[16:17]
	s_and_saveexec_b64 s[8:9], s[0:1]
	s_cbranch_execz .LBB52_10
; %bb.9:                                ;   in Loop: Header=BB52_4 Depth=1
	v_mov_b32_e32 v15, s25
	v_add_co_u32_e32 v16, vcc, s26, v2
	v_addc_co_u32_e32 v17, vcc, v3, v15, vcc
	global_load_ushort v15, v[16:17], off
.LBB52_10:                              ;   in Loop: Header=BB52_4 Depth=1
	s_or_b64 exec, exec, s[8:9]
	v_mov_b32_e32 v17, s21
	v_add_co_u32_e32 v16, vcc, s20, v8
	v_addc_co_u32_e32 v17, vcc, v9, v17, vcc
	v_cmp_gt_u64_e32 vcc, s[18:19], v[16:17]
	v_mov_b32_e32 v16, 0
	s_and_saveexec_b64 s[22:23], vcc
	s_cbranch_execz .LBB52_12
; %bb.11:                               ;   in Loop: Header=BB52_4 Depth=1
	v_mov_b32_e32 v17, s30
	v_add_co_u32_e64 v16, s[8:9], s29, v2
	v_addc_co_u32_e64 v17, s[8:9], v3, v17, s[8:9]
	global_load_ushort v16, v[16:17], off
.LBB52_12:                              ;   in Loop: Header=BB52_4 Depth=1
	s_or_b64 exec, exec, s[22:23]
	global_load_ushort v17, v1, s[10:11]
	s_waitcnt vmcnt(0)
	v_mul_lo_u32 v20, v17, s27
	v_cvt_f32_i32_sdwa v17, sext(v20) dst_sel:DWORD dst_unused:UNUSED_PAD src0_sel:WORD_0
	v_rcp_iflag_f32_e32 v19, v17
	s_and_saveexec_b64 s[8:9], s[6:7]
	s_cbranch_execnz .LBB52_16
; %bb.13:                               ;   in Loop: Header=BB52_4 Depth=1
	s_or_b64 exec, exec, s[8:9]
	v_and_b32_e32 v21, 0x7fffffff, v17
	s_and_saveexec_b64 s[6:7], s[2:3]
	s_cbranch_execnz .LBB52_17
.LBB52_14:                              ;   in Loop: Header=BB52_4 Depth=1
	s_or_b64 exec, exec, s[6:7]
	s_and_saveexec_b64 s[2:3], s[0:1]
	s_cbranch_execnz .LBB52_18
.LBB52_15:                              ;   in Loop: Header=BB52_4 Depth=1
	s_or_b64 exec, exec, s[2:3]
	s_and_saveexec_b64 s[0:1], vcc
	s_cbranch_execz .LBB52_3
	s_branch .LBB52_19
.LBB52_16:                              ;   in Loop: Header=BB52_4 Depth=1
	v_bfe_i32 v21, v21, 0, 16
	v_cvt_f32_i32_e32 v22, v21
	v_xor_b32_sdwa v21, v21, sext(v20) dst_sel:DWORD dst_unused:UNUSED_PAD src0_sel:DWORD src1_sel:WORD_0
	v_ashrrev_i32_e32 v21, 30, v21
	v_or_b32_e32 v21, 1, v21
	v_mul_f32_e32 v23, v22, v19
	v_trunc_f32_e32 v23, v23
	v_cvt_i32_f32_e32 v24, v23
	v_mad_f32 v22, -v23, v17, v22
	v_cmp_ge_f32_e64 s[6:7], |v22|, |v17|
	v_cndmask_b32_e64 v21, 0, v21, s[6:7]
	v_add_u32_e32 v21, v24, v21
	global_store_short v[2:3], v21, off
	s_or_b64 exec, exec, s[8:9]
	v_and_b32_e32 v21, 0x7fffffff, v17
	s_and_saveexec_b64 s[6:7], s[2:3]
	s_cbranch_execz .LBB52_14
.LBB52_17:                              ;   in Loop: Header=BB52_4 Depth=1
	v_bfe_i32 v18, v18, 0, 16
	v_cvt_f32_i32_e32 v22, v18
	v_xor_b32_sdwa v18, v18, sext(v20) dst_sel:DWORD dst_unused:UNUSED_PAD src0_sel:DWORD src1_sel:WORD_0
	v_ashrrev_i32_e32 v18, 30, v18
	v_or_b32_e32 v18, 1, v18
	v_mul_f32_e32 v23, v22, v19
	v_trunc_f32_e32 v23, v23
	v_cvt_i32_f32_e32 v24, v23
	v_mad_f32 v22, -v23, v17, v22
	v_cmp_ge_f32_e64 s[2:3], |v22|, v21
	v_cndmask_b32_e64 v18, 0, v18, s[2:3]
	v_add_u32_e32 v18, v24, v18
	global_store_short v[4:5], v18, off
	s_or_b64 exec, exec, s[6:7]
	s_and_saveexec_b64 s[2:3], s[0:1]
	s_cbranch_execz .LBB52_15
.LBB52_18:                              ;   in Loop: Header=BB52_4 Depth=1
	v_bfe_i32 v15, v15, 0, 16
	v_cvt_f32_i32_e32 v18, v15
	v_xor_b32_sdwa v15, v15, sext(v20) dst_sel:DWORD dst_unused:UNUSED_PAD src0_sel:DWORD src1_sel:WORD_0
	v_ashrrev_i32_e32 v15, 30, v15
	v_or_b32_e32 v15, 1, v15
	v_mul_f32_e32 v22, v18, v19
	v_trunc_f32_e32 v22, v22
	v_cvt_i32_f32_e32 v23, v22
	v_mad_f32 v18, -v22, v17, v18
	v_cmp_ge_f32_e64 s[0:1], |v18|, v21
	v_cndmask_b32_e64 v15, 0, v15, s[0:1]
	v_mov_b32_e32 v18, s25
	v_add_co_u32_e64 v22, s[0:1], s26, v2
	v_add_u32_e32 v15, v23, v15
	v_addc_co_u32_e64 v23, s[0:1], v3, v18, s[0:1]
	global_store_short v[22:23], v15, off
	s_or_b64 exec, exec, s[2:3]
	s_and_saveexec_b64 s[0:1], vcc
	s_cbranch_execz .LBB52_3
.LBB52_19:                              ;   in Loop: Header=BB52_4 Depth=1
	v_bfe_i32 v15, v16, 0, 16
	v_cvt_f32_i32_e32 v16, v15
	v_xor_b32_sdwa v15, v15, sext(v20) dst_sel:DWORD dst_unused:UNUSED_PAD src0_sel:DWORD src1_sel:WORD_0
	v_ashrrev_i32_e32 v15, 30, v15
	v_or_b32_e32 v15, 1, v15
	v_mul_f32_e32 v18, v16, v19
	v_trunc_f32_e32 v18, v18
	v_cvt_i32_f32_e32 v19, v18
	v_mad_f32 v16, -v18, v17, v16
	v_cmp_ge_f32_e64 vcc, |v16|, v21
	v_cndmask_b32_e32 v15, 0, v15, vcc
	v_mov_b32_e32 v17, s30
	v_add_co_u32_e32 v16, vcc, s29, v2
	v_add_u32_e32 v15, v19, v15
	v_addc_co_u32_e32 v17, vcc, v3, v17, vcc
	global_store_short v[16:17], v15, off
	s_branch .LBB52_3
.LBB52_20:
	s_cbranch_execz .LBB52_22
	s_branch .LBB52_25
.LBB52_21:
.LBB52_22:
	v_mov_b32_e32 v3, 0
	v_lshlrev_b32_e32 v2, 2, v0
	s_mov_b32 s0, 0
	v_cmp_gt_i64_e32 vcc, s[12:13], v[2:3]
	s_and_saveexec_b64 s[2:3], vcc
	s_cbranch_execz .LBB52_25
; %bb.23:
	s_load_dword s1, s[4:5], 0xd4c
	s_and_b32 s8, 0xffff, s24
	v_lshlrev_b32_e32 v1, 3, v0
	s_mov_b64 s[4:5], 0
	s_mov_b64 s[6:7], 0xffff
	s_waitcnt lgkmcnt(0)
	s_and_b32 s1, s1, 0xffff
	s_add_u32 s2, s14, s16
	s_addc_u32 s3, s15, s17
	v_mov_b32_e32 v2, s3
	v_add_co_u32_e32 v4, vcc, s2, v1
	v_addc_co_u32_e32 v5, vcc, 0, v2, vcc
	v_add_lshl_u32 v2, v0, s1, 2
	s_lshl_b32 s9, s1, 3
	s_lshl_b32 s14, s1, 2
	v_mov_b32_e32 v6, s0
	v_mov_b32_e32 v7, s0
	v_pk_mov_b32 v[0:1], v[2:3], v[2:3] op_sel:[0,1]
.LBB52_24:                              ; =>This Inner Loop Header: Depth=1
	global_load_ushort v2, v3, s[10:11]
	global_load_dwordx2 v[8:9], v[4:5], off
	v_cmp_le_i64_e32 vcc, s[12:13], v[0:1]
	v_cmp_lt_u64_e64 s[0:1], s[6:7], v[0:1]
	s_or_b64 s[0:1], vcc, s[0:1]
	v_add_co_u32_e64 v0, s[2:3], s14, v0
	s_and_b64 s[0:1], exec, s[0:1]
	v_addc_co_u32_e64 v1, s[2:3], v1, v7, s[2:3]
	s_or_b64 s[4:5], s[0:1], s[4:5]
	s_waitcnt vmcnt(1)
	v_mul_lo_u32 v2, v2, s8
	s_waitcnt vmcnt(0)
	v_ashrrev_i64 v[10:11], 48, v[8:9]
	v_cvt_f32_i32_sdwa v11, sext(v2) dst_sel:DWORD dst_unused:UNUSED_PAD src0_sel:WORD_0
	v_cvt_f32_i32_sdwa v12, sext(v8) dst_sel:DWORD dst_unused:UNUSED_PAD src0_sel:WORD_0
	v_cvt_f32_i32_sdwa v13, sext(v8) dst_sel:DWORD dst_unused:UNUSED_PAD src0_sel:WORD_1
	v_alignbit_b32 v14, v9, v8, 16
	v_rcp_iflag_f32_e32 v16, v11
	v_xor_b32_sdwa v9, sext(v8), sext(v2) dst_sel:DWORD dst_unused:UNUSED_PAD src0_sel:WORD_0 src1_sel:WORD_0
	v_xor_b32_sdwa v8, sext(v8), sext(v2) dst_sel:DWORD dst_unused:UNUSED_PAD src0_sel:WORD_1 src1_sel:WORD_0
	v_xor_b32_sdwa v15, sext(v14), sext(v2) dst_sel:DWORD dst_unused:UNUSED_PAD src0_sel:WORD_1 src1_sel:WORD_0
	v_cvt_f32_i32_sdwa v14, sext(v14) dst_sel:DWORD dst_unused:UNUSED_PAD src0_sel:WORD_1
	v_xor_b32_sdwa v2, v10, sext(v2) dst_sel:DWORD dst_unused:UNUSED_PAD src0_sel:DWORD src1_sel:WORD_0
	v_cvt_f32_i32_e32 v10, v10
	v_mul_f32_e32 v17, v12, v16
	v_mul_f32_e32 v18, v13, v16
	v_trunc_f32_e32 v17, v17
	v_ashrrev_i32_e32 v9, 30, v9
	v_mul_f32_e32 v19, v14, v16
	v_mul_f32_e32 v16, v10, v16
	v_trunc_f32_e32 v18, v18
	v_mad_f32 v12, -v17, v11, v12
	v_ashrrev_i32_e32 v8, 30, v8
	v_or_b32_e32 v9, 1, v9
	v_trunc_f32_e32 v19, v19
	v_trunc_f32_e32 v16, v16
	v_mad_f32 v13, -v18, v11, v13
	v_cmp_ge_f32_e64 vcc, |v12|, |v11|
	v_ashrrev_i32_e32 v15, 30, v15
	v_or_b32_e32 v8, 1, v8
	v_cvt_i32_f32_e32 v17, v17
	v_mad_f32 v14, -v19, v11, v14
	v_cvt_i32_f32_e32 v19, v19
	v_mad_f32 v10, -v16, v11, v10
	v_cvt_i32_f32_e32 v16, v16
	v_cndmask_b32_e32 v9, 0, v9, vcc
	v_cmp_ge_f32_e64 vcc, |v13|, |v11|
	v_ashrrev_i32_e32 v2, 30, v2
	v_or_b32_e32 v15, 1, v15
	v_cvt_i32_f32_e32 v18, v18
	v_cndmask_b32_e32 v8, 0, v8, vcc
	v_cmp_ge_f32_e64 vcc, |v14|, |v11|
	v_or_b32_e32 v2, 1, v2
	v_cndmask_b32_e32 v12, 0, v15, vcc
	v_cmp_ge_f32_e64 vcc, |v10|, |v11|
	v_cndmask_b32_e32 v2, 0, v2, vcc
	v_add_u32_e32 v10, v17, v9
	v_add_u32_e32 v9, v19, v12
	v_add_lshl_u32 v2, v16, v2, 16
	v_add_u32_e32 v8, v18, v8
	v_or_b32_sdwa v9, v2, v9 dst_sel:DWORD dst_unused:UNUSED_PAD src0_sel:DWORD src1_sel:WORD_0
	v_and_b32_e32 v2, 0xffff, v10
	v_lshl_or_b32 v8, v8, 16, v2
	global_store_dwordx2 v[4:5], v[8:9], off
	v_add_co_u32_e32 v4, vcc, s9, v4
	v_addc_co_u32_e32 v5, vcc, v5, v6, vcc
	s_andn2_b64 exec, exec, s[4:5]
	s_cbranch_execnz .LBB52_24
.LBB52_25:
	s_endpgm
	.section	.rodata,"a",@progbits
	.p2align	6, 0x0
	.amdhsa_kernel _ZN2at6native12_GLOBAL__N_125multi_tensor_apply_kernelINS1_18TensorListMetadataILi1EEENS1_27BinaryOpScalarTensorFunctorIsLi1ELi1ELi0EEEJSt7dividesIsEPssEEEvT_T0_DpT1_
		.amdhsa_group_segment_fixed_size 0
		.amdhsa_private_segment_fixed_size 0
		.amdhsa_kernarg_size 3648
		.amdhsa_user_sgpr_count 6
		.amdhsa_user_sgpr_private_segment_buffer 1
		.amdhsa_user_sgpr_dispatch_ptr 0
		.amdhsa_user_sgpr_queue_ptr 0
		.amdhsa_user_sgpr_kernarg_segment_ptr 1
		.amdhsa_user_sgpr_dispatch_id 0
		.amdhsa_user_sgpr_flat_scratch_init 0
		.amdhsa_user_sgpr_kernarg_preload_length 0
		.amdhsa_user_sgpr_kernarg_preload_offset 0
		.amdhsa_user_sgpr_private_segment_size 0
		.amdhsa_uses_dynamic_stack 0
		.amdhsa_system_sgpr_private_segment_wavefront_offset 0
		.amdhsa_system_sgpr_workgroup_id_x 1
		.amdhsa_system_sgpr_workgroup_id_y 0
		.amdhsa_system_sgpr_workgroup_id_z 0
		.amdhsa_system_sgpr_workgroup_info 0
		.amdhsa_system_vgpr_workitem_id 0
		.amdhsa_next_free_vgpr 25
		.amdhsa_next_free_sgpr 31
		.amdhsa_accum_offset 28
		.amdhsa_reserve_vcc 1
		.amdhsa_reserve_flat_scratch 0
		.amdhsa_float_round_mode_32 0
		.amdhsa_float_round_mode_16_64 0
		.amdhsa_float_denorm_mode_32 3
		.amdhsa_float_denorm_mode_16_64 3
		.amdhsa_dx10_clamp 1
		.amdhsa_ieee_mode 1
		.amdhsa_fp16_overflow 0
		.amdhsa_tg_split 0
		.amdhsa_exception_fp_ieee_invalid_op 0
		.amdhsa_exception_fp_denorm_src 0
		.amdhsa_exception_fp_ieee_div_zero 0
		.amdhsa_exception_fp_ieee_overflow 0
		.amdhsa_exception_fp_ieee_underflow 0
		.amdhsa_exception_fp_ieee_inexact 0
		.amdhsa_exception_int_div_zero 0
	.end_amdhsa_kernel
	.section	.text._ZN2at6native12_GLOBAL__N_125multi_tensor_apply_kernelINS1_18TensorListMetadataILi1EEENS1_27BinaryOpScalarTensorFunctorIsLi1ELi1ELi0EEEJSt7dividesIsEPssEEEvT_T0_DpT1_,"axG",@progbits,_ZN2at6native12_GLOBAL__N_125multi_tensor_apply_kernelINS1_18TensorListMetadataILi1EEENS1_27BinaryOpScalarTensorFunctorIsLi1ELi1ELi0EEEJSt7dividesIsEPssEEEvT_T0_DpT1_,comdat
.Lfunc_end52:
	.size	_ZN2at6native12_GLOBAL__N_125multi_tensor_apply_kernelINS1_18TensorListMetadataILi1EEENS1_27BinaryOpScalarTensorFunctorIsLi1ELi1ELi0EEEJSt7dividesIsEPssEEEvT_T0_DpT1_, .Lfunc_end52-_ZN2at6native12_GLOBAL__N_125multi_tensor_apply_kernelINS1_18TensorListMetadataILi1EEENS1_27BinaryOpScalarTensorFunctorIsLi1ELi1ELi0EEEJSt7dividesIsEPssEEEvT_T0_DpT1_
                                        ; -- End function
	.section	.AMDGPU.csdata,"",@progbits
; Kernel info:
; codeLenInByte = 1600
; NumSgprs: 35
; NumVgprs: 25
; NumAgprs: 0
; TotalNumVgprs: 25
; ScratchSize: 0
; MemoryBound: 0
; FloatMode: 240
; IeeeMode: 1
; LDSByteSize: 0 bytes/workgroup (compile time only)
; SGPRBlocks: 4
; VGPRBlocks: 3
; NumSGPRsForWavesPerEU: 35
; NumVGPRsForWavesPerEU: 25
; AccumOffset: 28
; Occupancy: 8
; WaveLimiterHint : 0
; COMPUTE_PGM_RSRC2:SCRATCH_EN: 0
; COMPUTE_PGM_RSRC2:USER_SGPR: 6
; COMPUTE_PGM_RSRC2:TRAP_HANDLER: 0
; COMPUTE_PGM_RSRC2:TGID_X_EN: 1
; COMPUTE_PGM_RSRC2:TGID_Y_EN: 0
; COMPUTE_PGM_RSRC2:TGID_Z_EN: 0
; COMPUTE_PGM_RSRC2:TIDIG_COMP_CNT: 0
; COMPUTE_PGM_RSRC3_GFX90A:ACCUM_OFFSET: 6
; COMPUTE_PGM_RSRC3_GFX90A:TG_SPLIT: 0
	.section	.text._ZN2at6native12_GLOBAL__N_125multi_tensor_apply_kernelINS1_18TensorListMetadataILi1EEENS1_27BinaryOpScalarTensorFunctorIdLi1ELi1ELi0EEEJSt7dividesIdEPddEEEvT_T0_DpT1_,"axG",@progbits,_ZN2at6native12_GLOBAL__N_125multi_tensor_apply_kernelINS1_18TensorListMetadataILi1EEENS1_27BinaryOpScalarTensorFunctorIdLi1ELi1ELi0EEEJSt7dividesIdEPddEEEvT_T0_DpT1_,comdat
	.globl	_ZN2at6native12_GLOBAL__N_125multi_tensor_apply_kernelINS1_18TensorListMetadataILi1EEENS1_27BinaryOpScalarTensorFunctorIdLi1ELi1ELi0EEEJSt7dividesIdEPddEEEvT_T0_DpT1_ ; -- Begin function _ZN2at6native12_GLOBAL__N_125multi_tensor_apply_kernelINS1_18TensorListMetadataILi1EEENS1_27BinaryOpScalarTensorFunctorIdLi1ELi1ELi0EEEJSt7dividesIdEPddEEEvT_T0_DpT1_
	.p2align	8
	.type	_ZN2at6native12_GLOBAL__N_125multi_tensor_apply_kernelINS1_18TensorListMetadataILi1EEENS1_27BinaryOpScalarTensorFunctorIdLi1ELi1ELi0EEEJSt7dividesIdEPddEEEvT_T0_DpT1_,@function
_ZN2at6native12_GLOBAL__N_125multi_tensor_apply_kernelINS1_18TensorListMetadataILi1EEENS1_27BinaryOpScalarTensorFunctorIdLi1ELi1ELi0EEEJSt7dividesIdEPddEEEvT_T0_DpT1_: ; @_ZN2at6native12_GLOBAL__N_125multi_tensor_apply_kernelINS1_18TensorListMetadataILi1EEENS1_27BinaryOpScalarTensorFunctorIdLi1ELi1ELi0EEEJSt7dividesIdEPddEEEvT_T0_DpT1_
; %bb.0:
	v_mov_b32_e32 v1, s6
	global_load_ubyte v1, v1, s[4:5] offset:1760
	s_add_u32 s0, s4, s6
	s_mul_hi_u32 s1, s6, 3
	s_mul_i32 s6, s6, 3
	s_addc_u32 s2, s5, 0
	s_add_u32 s0, s0, s6
	s_addc_u32 s1, s2, s1
	s_load_dword s0, s[0:1], 0x820
	s_mov_b32 s7, 0
	s_load_dwordx4 s[12:15], s[4:5], 0xd30
	s_waitcnt vmcnt(0)
	v_readfirstlane_b32 s1, v1
	s_lshl_b32 s1, s1, 3
	s_load_dwordx2 s[2:3], s[4:5], s1 offset:0x370
	s_load_dwordx2 s[16:17], s[4:5], s1 offset:0x0
	s_waitcnt lgkmcnt(0)
	s_ashr_i32 s1, s0, 31
	s_lshl_b64 s[18:19], s[0:1], 19
	s_lshl_b64 s[0:1], s[0:1], 16
	s_and_b32 s6, s16, 31
	s_sub_u32 s10, s2, s0
	s_subb_u32 s11, s3, s1
	s_and_b32 s0, s2, 3
	s_mov_b32 s1, s7
	s_or_b64 s[0:1], s[6:7], s[0:1]
	s_cmp_eq_u64 s[0:1], 0
	s_cbranch_scc1 .LBB53_21
; %bb.1:
	v_cmp_lt_i64_e64 s[0:1], s[10:11], 1
	s_and_b64 vcc, exec, s[0:1]
	s_cbranch_vccnz .LBB53_20
; %bb.2:
	s_load_dword s0, s[4:5], 0xd4c
	v_mov_b32_e32 v2, 0x10000
	v_mov_b32_e32 v3, 0
	v_cmp_lt_u64_e32 vcc, s[10:11], v[2:3]
	v_lshlrev_b32_e32 v2, 3, v0
	s_waitcnt lgkmcnt(0)
	s_and_b32 s2, s0, 0xffff
	s_and_b64 s[0:1], vcc, exec
	s_cselect_b32 s21, s11, 0
	s_cselect_b32 s20, s10, 0x10000
	s_lshl_b32 s3, s2, 1
	s_lshl_b32 s27, s2, 2
	s_add_u32 s6, s16, s18
	s_addc_u32 s7, s17, s19
	v_mov_b32_e32 v3, s7
	v_add_co_u32_e32 v2, vcc, s6, v2
	s_mul_i32 s0, s2, 3
	v_addc_co_u32_e32 v3, vcc, 0, v3, vcc
	v_add_co_u32_e32 v16, vcc, s0, v0
	v_addc_co_u32_e64 v17, s[0:1], 0, 0, vcc
	v_add_co_u32_e32 v18, vcc, s3, v0
	v_addc_co_u32_e64 v19, s[0:1], 0, 0, vcc
	v_add_co_u32_e32 v20, vcc, s2, v0
	v_lshlrev_b32_e32 v4, 3, v20
	s_mov_b32 s26, 0
	v_addc_co_u32_e64 v21, s[0:1], 0, 0, vcc
	v_mov_b32_e32 v5, s7
	v_add_co_u32_e32 v4, vcc, s6, v4
	v_mov_b32_e32 v1, 0
	s_lshl_b32 s28, s2, 5
	s_mul_i32 s29, s2, 24
	s_mov_b32 s30, s26
	s_lshl_b32 s31, s2, 4
	s_mov_b32 s33, s26
	v_addc_co_u32_e32 v5, vcc, 0, v5, vcc
	s_mov_b64 s[22:23], 0
	s_branch .LBB53_4
.LBB53_3:                               ;   in Loop: Header=BB53_4 Depth=1
	s_or_b64 exec, exec, s[2:3]
	s_add_u32 s22, s22, s27
	s_addc_u32 s23, s23, 0
	v_pk_mov_b32 v[6:7], s[10:11], s[10:11] op_sel:[0,1]
	v_cmp_lt_i64_e32 vcc, s[22:23], v[6:7]
	v_mov_b32_e32 v6, 0x10000
	v_mov_b32_e32 v7, 0
	v_cmp_lt_u64_e64 s[0:1], s[22:23], v[6:7]
	s_and_b64 s[0:1], vcc, s[0:1]
	v_mov_b32_e32 v6, s26
	v_add_co_u32_e32 v2, vcc, s28, v2
	v_addc_co_u32_e32 v3, vcc, v3, v6, vcc
	v_add_co_u32_e32 v4, vcc, s28, v4
	v_addc_co_u32_e32 v5, vcc, v5, v6, vcc
	s_and_b64 vcc, exec, s[0:1]
	s_cbranch_vccz .LBB53_20
.LBB53_4:                               ; =>This Inner Loop Header: Depth=1
	v_mov_b32_e32 v7, s23
	v_add_co_u32_e32 v6, vcc, s22, v0
	v_addc_co_u32_e32 v7, vcc, 0, v7, vcc
	v_pk_mov_b32 v[8:9], 0, 0
	v_cmp_gt_u64_e32 vcc, s[20:21], v[6:7]
	v_pk_mov_b32 v[14:15], v[8:9], v[8:9] op_sel:[0,1]
	s_and_saveexec_b64 s[0:1], vcc
	s_cbranch_execz .LBB53_6
; %bb.5:                                ;   in Loop: Header=BB53_4 Depth=1
	global_load_dwordx2 v[14:15], v[2:3], off
.LBB53_6:                               ;   in Loop: Header=BB53_4 Depth=1
	s_or_b64 exec, exec, s[0:1]
	v_mov_b32_e32 v7, s23
	v_add_co_u32_e64 v6, s[0:1], s22, v20
	v_addc_co_u32_e64 v7, s[0:1], v21, v7, s[0:1]
	v_cmp_gt_u64_e64 s[6:7], s[20:21], v[6:7]
	s_and_saveexec_b64 s[0:1], s[6:7]
	s_cbranch_execz .LBB53_8
; %bb.7:                                ;   in Loop: Header=BB53_4 Depth=1
	global_load_dwordx2 v[8:9], v[4:5], off
.LBB53_8:                               ;   in Loop: Header=BB53_4 Depth=1
	s_or_b64 exec, exec, s[0:1]
	v_mov_b32_e32 v7, s23
	v_add_co_u32_e64 v6, s[0:1], s22, v18
	v_addc_co_u32_e64 v7, s[0:1], v19, v7, s[0:1]
	v_cmp_gt_u64_e64 s[2:3], s[20:21], v[6:7]
	v_pk_mov_b32 v[6:7], 0, 0
	v_pk_mov_b32 v[10:11], v[6:7], v[6:7] op_sel:[0,1]
	s_and_saveexec_b64 s[8:9], s[2:3]
	s_cbranch_execz .LBB53_10
; %bb.9:                                ;   in Loop: Header=BB53_4 Depth=1
	v_mov_b32_e32 v11, s33
	v_add_co_u32_e64 v10, s[0:1], s31, v2
	v_addc_co_u32_e64 v11, s[0:1], v3, v11, s[0:1]
	global_load_dwordx2 v[10:11], v[10:11], off
.LBB53_10:                              ;   in Loop: Header=BB53_4 Depth=1
	s_or_b64 exec, exec, s[8:9]
	v_mov_b32_e32 v13, s23
	v_add_co_u32_e64 v12, s[0:1], s22, v16
	v_addc_co_u32_e64 v13, s[0:1], v17, v13, s[0:1]
	v_cmp_gt_u64_e64 s[0:1], s[20:21], v[12:13]
	s_and_saveexec_b64 s[24:25], s[0:1]
	s_cbranch_execz .LBB53_12
; %bb.11:                               ;   in Loop: Header=BB53_4 Depth=1
	v_mov_b32_e32 v7, s30
	v_add_co_u32_e64 v6, s[8:9], s29, v2
	v_addc_co_u32_e64 v7, s[8:9], v3, v7, s[8:9]
	global_load_dwordx2 v[6:7], v[6:7], off
.LBB53_12:                              ;   in Loop: Header=BB53_4 Depth=1
	s_or_b64 exec, exec, s[24:25]
	global_load_dwordx2 v[12:13], v1, s[12:13]
	s_waitcnt vmcnt(0)
	v_mul_f64 v[12:13], v[12:13], s[14:15]
	s_and_saveexec_b64 s[8:9], vcc
	s_cbranch_execnz .LBB53_16
; %bb.13:                               ;   in Loop: Header=BB53_4 Depth=1
	s_or_b64 exec, exec, s[8:9]
	s_and_saveexec_b64 s[8:9], s[6:7]
	s_cbranch_execnz .LBB53_17
.LBB53_14:                              ;   in Loop: Header=BB53_4 Depth=1
	s_or_b64 exec, exec, s[8:9]
	s_and_saveexec_b64 s[6:7], s[2:3]
	s_cbranch_execnz .LBB53_18
.LBB53_15:                              ;   in Loop: Header=BB53_4 Depth=1
	s_or_b64 exec, exec, s[6:7]
	s_and_saveexec_b64 s[2:3], s[0:1]
	s_cbranch_execz .LBB53_3
	s_branch .LBB53_19
.LBB53_16:                              ;   in Loop: Header=BB53_4 Depth=1
	v_div_scale_f64 v[22:23], s[24:25], v[12:13], v[12:13], v[14:15]
	v_rcp_f64_e32 v[24:25], v[22:23]
	v_div_scale_f64 v[26:27], vcc, v[14:15], v[12:13], v[14:15]
	v_fma_f64 v[28:29], -v[22:23], v[24:25], 1.0
	v_fmac_f64_e32 v[24:25], v[24:25], v[28:29]
	v_fma_f64 v[28:29], -v[22:23], v[24:25], 1.0
	v_fmac_f64_e32 v[24:25], v[24:25], v[28:29]
	v_mul_f64 v[28:29], v[26:27], v[24:25]
	v_fma_f64 v[22:23], -v[22:23], v[28:29], v[26:27]
	v_div_fmas_f64 v[22:23], v[22:23], v[24:25], v[28:29]
	v_div_fixup_f64 v[14:15], v[22:23], v[12:13], v[14:15]
	global_store_dwordx2 v[2:3], v[14:15], off
	s_or_b64 exec, exec, s[8:9]
	s_and_saveexec_b64 s[8:9], s[6:7]
	s_cbranch_execz .LBB53_14
.LBB53_17:                              ;   in Loop: Header=BB53_4 Depth=1
	v_div_scale_f64 v[14:15], s[6:7], v[12:13], v[12:13], v[8:9]
	v_rcp_f64_e32 v[22:23], v[14:15]
	v_div_scale_f64 v[24:25], vcc, v[8:9], v[12:13], v[8:9]
	v_fma_f64 v[26:27], -v[14:15], v[22:23], 1.0
	v_fmac_f64_e32 v[22:23], v[22:23], v[26:27]
	v_fma_f64 v[26:27], -v[14:15], v[22:23], 1.0
	v_fmac_f64_e32 v[22:23], v[22:23], v[26:27]
	v_mul_f64 v[26:27], v[24:25], v[22:23]
	v_fma_f64 v[14:15], -v[14:15], v[26:27], v[24:25]
	v_div_fmas_f64 v[14:15], v[14:15], v[22:23], v[26:27]
	v_div_fixup_f64 v[8:9], v[14:15], v[12:13], v[8:9]
	global_store_dwordx2 v[4:5], v[8:9], off
	s_or_b64 exec, exec, s[8:9]
	s_and_saveexec_b64 s[6:7], s[2:3]
	s_cbranch_execz .LBB53_15
.LBB53_18:                              ;   in Loop: Header=BB53_4 Depth=1
	v_div_scale_f64 v[8:9], s[2:3], v[12:13], v[12:13], v[10:11]
	v_rcp_f64_e32 v[14:15], v[8:9]
	v_div_scale_f64 v[22:23], vcc, v[10:11], v[12:13], v[10:11]
	v_fma_f64 v[24:25], -v[8:9], v[14:15], 1.0
	v_fmac_f64_e32 v[14:15], v[14:15], v[24:25]
	v_fma_f64 v[24:25], -v[8:9], v[14:15], 1.0
	v_fmac_f64_e32 v[14:15], v[14:15], v[24:25]
	v_mul_f64 v[24:25], v[22:23], v[14:15]
	v_fma_f64 v[8:9], -v[8:9], v[24:25], v[22:23]
	v_div_fmas_f64 v[8:9], v[8:9], v[14:15], v[24:25]
	v_div_fixup_f64 v[8:9], v[8:9], v[12:13], v[10:11]
	v_mov_b32_e32 v11, s33
	v_add_co_u32_e32 v10, vcc, s31, v2
	v_addc_co_u32_e32 v11, vcc, v3, v11, vcc
	global_store_dwordx2 v[10:11], v[8:9], off
	s_or_b64 exec, exec, s[6:7]
	s_and_saveexec_b64 s[2:3], s[0:1]
	s_cbranch_execz .LBB53_3
.LBB53_19:                              ;   in Loop: Header=BB53_4 Depth=1
	v_div_scale_f64 v[8:9], s[0:1], v[12:13], v[12:13], v[6:7]
	v_rcp_f64_e32 v[10:11], v[8:9]
	v_div_scale_f64 v[14:15], vcc, v[6:7], v[12:13], v[6:7]
	v_fma_f64 v[22:23], -v[8:9], v[10:11], 1.0
	v_fmac_f64_e32 v[10:11], v[10:11], v[22:23]
	v_fma_f64 v[22:23], -v[8:9], v[10:11], 1.0
	v_fmac_f64_e32 v[10:11], v[10:11], v[22:23]
	v_mul_f64 v[22:23], v[14:15], v[10:11]
	v_fma_f64 v[8:9], -v[8:9], v[22:23], v[14:15]
	v_div_fmas_f64 v[8:9], v[8:9], v[10:11], v[22:23]
	v_div_fixup_f64 v[6:7], v[8:9], v[12:13], v[6:7]
	v_mov_b32_e32 v9, s30
	v_add_co_u32_e32 v8, vcc, s29, v2
	v_addc_co_u32_e32 v9, vcc, v3, v9, vcc
	global_store_dwordx2 v[8:9], v[6:7], off
	s_branch .LBB53_3
.LBB53_20:
	s_cbranch_execz .LBB53_22
	s_branch .LBB53_25
.LBB53_21:
.LBB53_22:
	v_mov_b32_e32 v3, 0
	v_lshlrev_b32_e32 v2, 2, v0
	s_mov_b32 s0, 0
	v_cmp_gt_i64_e32 vcc, s[10:11], v[2:3]
	s_and_saveexec_b64 s[2:3], vcc
	s_cbranch_execz .LBB53_25
; %bb.23:
	s_load_dword s1, s[4:5], 0xd4c
	v_lshlrev_b32_e32 v1, 5, v0
	s_mov_b64 s[6:7], 0
	s_mov_b64 s[8:9], 0xffff
	v_mov_b32_e32 v6, s0
	s_waitcnt lgkmcnt(0)
	s_and_b32 s1, s1, 0xffff
	s_lshl_b32 s20, s1, 2
	s_add_u32 s2, s16, s18
	s_addc_u32 s3, s17, s19
	v_add_lshl_u32 v2, v0, s1, 2
	v_mov_b32_e32 v0, s3
	v_add_co_u32_e32 v1, vcc, s2, v1
	v_addc_co_u32_e32 v4, vcc, 0, v0, vcc
	v_add_co_u32_e32 v0, vcc, 16, v1
	v_addc_co_u32_e32 v1, vcc, 0, v4, vcc
	s_lshl_b32 s16, s1, 5
	v_mov_b32_e32 v7, s0
	v_pk_mov_b32 v[4:5], v[2:3], v[2:3] op_sel:[0,1]
.LBB53_24:                              ; =>This Inner Loop Header: Depth=1
	global_load_dwordx2 v[16:17], v3, s[12:13]
	global_load_dwordx4 v[8:11], v[0:1], off offset:-16
	global_load_dwordx4 v[12:15], v[0:1], off
	v_cmp_le_i64_e32 vcc, s[10:11], v[4:5]
	v_cmp_lt_u64_e64 s[0:1], s[8:9], v[4:5]
	s_or_b64 s[0:1], vcc, s[0:1]
	s_and_b64 s[0:1], exec, s[0:1]
	s_or_b64 s[6:7], s[0:1], s[6:7]
	v_add_co_u32_e64 v4, s[2:3], s20, v4
	v_addc_co_u32_e64 v5, s[2:3], v5, v6, s[2:3]
	s_waitcnt vmcnt(2)
	v_mul_f64 v[16:17], v[16:17], s[14:15]
	s_waitcnt vmcnt(1)
	v_div_scale_f64 v[18:19], s[0:1], v[16:17], v[16:17], v[8:9]
	v_div_scale_f64 v[22:23], s[0:1], v[16:17], v[16:17], v[10:11]
	v_rcp_f64_e32 v[34:35], v[18:19]
	s_waitcnt vmcnt(0)
	v_div_scale_f64 v[26:27], s[2:3], v[16:17], v[16:17], v[12:13]
	v_rcp_f64_e32 v[36:37], v[22:23]
	v_div_scale_f64 v[30:31], s[4:5], v[16:17], v[16:17], v[14:15]
	v_rcp_f64_e32 v[38:39], v[26:27]
	v_rcp_f64_e32 v[40:41], v[30:31]
	v_fma_f64 v[42:43], -v[18:19], v[34:35], 1.0
	v_fma_f64 v[44:45], -v[22:23], v[36:37], 1.0
	v_fmac_f64_e32 v[34:35], v[34:35], v[42:43]
	v_fma_f64 v[46:47], -v[26:27], v[38:39], 1.0
	v_fmac_f64_e32 v[36:37], v[36:37], v[44:45]
	v_fma_f64 v[42:43], -v[18:19], v[34:35], 1.0
	v_div_scale_f64 v[20:21], vcc, v[8:9], v[16:17], v[8:9]
	v_fma_f64 v[48:49], -v[30:31], v[40:41], 1.0
	v_fmac_f64_e32 v[38:39], v[38:39], v[46:47]
	v_fma_f64 v[44:45], -v[22:23], v[36:37], 1.0
	v_fmac_f64_e32 v[34:35], v[34:35], v[42:43]
	v_div_scale_f64 v[24:25], s[0:1], v[10:11], v[16:17], v[10:11]
	v_fmac_f64_e32 v[40:41], v[40:41], v[48:49]
	v_fma_f64 v[46:47], -v[26:27], v[38:39], 1.0
	v_fmac_f64_e32 v[36:37], v[36:37], v[44:45]
	v_mul_f64 v[42:43], v[20:21], v[34:35]
	v_div_scale_f64 v[28:29], s[2:3], v[12:13], v[16:17], v[12:13]
	v_fma_f64 v[48:49], -v[30:31], v[40:41], 1.0
	v_fmac_f64_e32 v[38:39], v[38:39], v[46:47]
	v_mul_f64 v[44:45], v[24:25], v[36:37]
	v_fma_f64 v[18:19], -v[18:19], v[42:43], v[20:21]
	v_div_scale_f64 v[32:33], s[4:5], v[14:15], v[16:17], v[14:15]
	v_fmac_f64_e32 v[40:41], v[40:41], v[48:49]
	v_mul_f64 v[46:47], v[28:29], v[38:39]
	v_fma_f64 v[20:21], -v[22:23], v[44:45], v[24:25]
	v_div_fmas_f64 v[18:19], v[18:19], v[34:35], v[42:43]
	s_mov_b64 vcc, s[0:1]
	v_mul_f64 v[48:49], v[32:33], v[40:41]
	v_fma_f64 v[22:23], -v[26:27], v[46:47], v[28:29]
	v_div_fixup_f64 v[8:9], v[18:19], v[16:17], v[8:9]
	v_div_fmas_f64 v[18:19], v[20:21], v[36:37], v[44:45]
	s_mov_b64 vcc, s[2:3]
	v_fma_f64 v[24:25], -v[30:31], v[48:49], v[32:33]
	v_div_fixup_f64 v[10:11], v[18:19], v[16:17], v[10:11]
	v_div_fmas_f64 v[18:19], v[22:23], v[38:39], v[46:47]
	s_mov_b64 vcc, s[4:5]
	v_div_fixup_f64 v[12:13], v[18:19], v[16:17], v[12:13]
	v_div_fmas_f64 v[18:19], v[24:25], v[40:41], v[48:49]
	v_div_fixup_f64 v[14:15], v[18:19], v[16:17], v[14:15]
	global_store_dwordx4 v[0:1], v[8:11], off offset:-16
	global_store_dwordx4 v[0:1], v[12:15], off
	v_add_co_u32_e32 v0, vcc, s16, v0
	v_addc_co_u32_e32 v1, vcc, v1, v7, vcc
	s_andn2_b64 exec, exec, s[6:7]
	s_cbranch_execnz .LBB53_24
.LBB53_25:
	s_endpgm
	.section	.rodata,"a",@progbits
	.p2align	6, 0x0
	.amdhsa_kernel _ZN2at6native12_GLOBAL__N_125multi_tensor_apply_kernelINS1_18TensorListMetadataILi1EEENS1_27BinaryOpScalarTensorFunctorIdLi1ELi1ELi0EEEJSt7dividesIdEPddEEEvT_T0_DpT1_
		.amdhsa_group_segment_fixed_size 0
		.amdhsa_private_segment_fixed_size 0
		.amdhsa_kernarg_size 3648
		.amdhsa_user_sgpr_count 6
		.amdhsa_user_sgpr_private_segment_buffer 1
		.amdhsa_user_sgpr_dispatch_ptr 0
		.amdhsa_user_sgpr_queue_ptr 0
		.amdhsa_user_sgpr_kernarg_segment_ptr 1
		.amdhsa_user_sgpr_dispatch_id 0
		.amdhsa_user_sgpr_flat_scratch_init 0
		.amdhsa_user_sgpr_kernarg_preload_length 0
		.amdhsa_user_sgpr_kernarg_preload_offset 0
		.amdhsa_user_sgpr_private_segment_size 0
		.amdhsa_uses_dynamic_stack 0
		.amdhsa_system_sgpr_private_segment_wavefront_offset 0
		.amdhsa_system_sgpr_workgroup_id_x 1
		.amdhsa_system_sgpr_workgroup_id_y 0
		.amdhsa_system_sgpr_workgroup_id_z 0
		.amdhsa_system_sgpr_workgroup_info 0
		.amdhsa_system_vgpr_workitem_id 0
		.amdhsa_next_free_vgpr 50
		.amdhsa_next_free_sgpr 34
		.amdhsa_accum_offset 52
		.amdhsa_reserve_vcc 1
		.amdhsa_reserve_flat_scratch 0
		.amdhsa_float_round_mode_32 0
		.amdhsa_float_round_mode_16_64 0
		.amdhsa_float_denorm_mode_32 3
		.amdhsa_float_denorm_mode_16_64 3
		.amdhsa_dx10_clamp 1
		.amdhsa_ieee_mode 1
		.amdhsa_fp16_overflow 0
		.amdhsa_tg_split 0
		.amdhsa_exception_fp_ieee_invalid_op 0
		.amdhsa_exception_fp_denorm_src 0
		.amdhsa_exception_fp_ieee_div_zero 0
		.amdhsa_exception_fp_ieee_overflow 0
		.amdhsa_exception_fp_ieee_underflow 0
		.amdhsa_exception_fp_ieee_inexact 0
		.amdhsa_exception_int_div_zero 0
	.end_amdhsa_kernel
	.section	.text._ZN2at6native12_GLOBAL__N_125multi_tensor_apply_kernelINS1_18TensorListMetadataILi1EEENS1_27BinaryOpScalarTensorFunctorIdLi1ELi1ELi0EEEJSt7dividesIdEPddEEEvT_T0_DpT1_,"axG",@progbits,_ZN2at6native12_GLOBAL__N_125multi_tensor_apply_kernelINS1_18TensorListMetadataILi1EEENS1_27BinaryOpScalarTensorFunctorIdLi1ELi1ELi0EEEJSt7dividesIdEPddEEEvT_T0_DpT1_,comdat
.Lfunc_end53:
	.size	_ZN2at6native12_GLOBAL__N_125multi_tensor_apply_kernelINS1_18TensorListMetadataILi1EEENS1_27BinaryOpScalarTensorFunctorIdLi1ELi1ELi0EEEJSt7dividesIdEPddEEEvT_T0_DpT1_, .Lfunc_end53-_ZN2at6native12_GLOBAL__N_125multi_tensor_apply_kernelINS1_18TensorListMetadataILi1EEENS1_27BinaryOpScalarTensorFunctorIdLi1ELi1ELi0EEEJSt7dividesIdEPddEEEvT_T0_DpT1_
                                        ; -- End function
	.section	.AMDGPU.csdata,"",@progbits
; Kernel info:
; codeLenInByte = 1684
; NumSgprs: 38
; NumVgprs: 50
; NumAgprs: 0
; TotalNumVgprs: 50
; ScratchSize: 0
; MemoryBound: 0
; FloatMode: 240
; IeeeMode: 1
; LDSByteSize: 0 bytes/workgroup (compile time only)
; SGPRBlocks: 4
; VGPRBlocks: 6
; NumSGPRsForWavesPerEU: 38
; NumVGPRsForWavesPerEU: 50
; AccumOffset: 52
; Occupancy: 8
; WaveLimiterHint : 0
; COMPUTE_PGM_RSRC2:SCRATCH_EN: 0
; COMPUTE_PGM_RSRC2:USER_SGPR: 6
; COMPUTE_PGM_RSRC2:TRAP_HANDLER: 0
; COMPUTE_PGM_RSRC2:TGID_X_EN: 1
; COMPUTE_PGM_RSRC2:TGID_Y_EN: 0
; COMPUTE_PGM_RSRC2:TGID_Z_EN: 0
; COMPUTE_PGM_RSRC2:TIDIG_COMP_CNT: 0
; COMPUTE_PGM_RSRC3_GFX90A:ACCUM_OFFSET: 12
; COMPUTE_PGM_RSRC3_GFX90A:TG_SPLIT: 0
	.section	.text._ZN2at6native12_GLOBAL__N_125multi_tensor_apply_kernelINS1_18TensorListMetadataILi1EEENS1_27BinaryOpScalarTensorFunctorIfLi1ELi1ELi0EEEJSt7dividesIfEPffEEEvT_T0_DpT1_,"axG",@progbits,_ZN2at6native12_GLOBAL__N_125multi_tensor_apply_kernelINS1_18TensorListMetadataILi1EEENS1_27BinaryOpScalarTensorFunctorIfLi1ELi1ELi0EEEJSt7dividesIfEPffEEEvT_T0_DpT1_,comdat
	.globl	_ZN2at6native12_GLOBAL__N_125multi_tensor_apply_kernelINS1_18TensorListMetadataILi1EEENS1_27BinaryOpScalarTensorFunctorIfLi1ELi1ELi0EEEJSt7dividesIfEPffEEEvT_T0_DpT1_ ; -- Begin function _ZN2at6native12_GLOBAL__N_125multi_tensor_apply_kernelINS1_18TensorListMetadataILi1EEENS1_27BinaryOpScalarTensorFunctorIfLi1ELi1ELi0EEEJSt7dividesIfEPffEEEvT_T0_DpT1_
	.p2align	8
	.type	_ZN2at6native12_GLOBAL__N_125multi_tensor_apply_kernelINS1_18TensorListMetadataILi1EEENS1_27BinaryOpScalarTensorFunctorIfLi1ELi1ELi0EEEJSt7dividesIfEPffEEEvT_T0_DpT1_,@function
_ZN2at6native12_GLOBAL__N_125multi_tensor_apply_kernelINS1_18TensorListMetadataILi1EEENS1_27BinaryOpScalarTensorFunctorIfLi1ELi1ELi0EEEJSt7dividesIfEPffEEEvT_T0_DpT1_: ; @_ZN2at6native12_GLOBAL__N_125multi_tensor_apply_kernelINS1_18TensorListMetadataILi1EEENS1_27BinaryOpScalarTensorFunctorIfLi1ELi1ELi0EEEJSt7dividesIfEPffEEEvT_T0_DpT1_
; %bb.0:
	v_mov_b32_e32 v1, s6
	global_load_ubyte v1, v1, s[4:5] offset:1760
	s_add_u32 s0, s4, s6
	s_mul_hi_u32 s1, s6, 3
	s_mul_i32 s6, s6, 3
	s_addc_u32 s2, s5, 0
	s_add_u32 s0, s0, s6
	s_addc_u32 s1, s2, s1
	s_load_dword s0, s[0:1], 0x820
	s_mov_b32 s7, 0
	s_load_dword s24, s[4:5], 0xd38
	s_waitcnt vmcnt(0)
	v_readfirstlane_b32 s1, v1
	s_lshl_b32 s1, s1, 3
	s_load_dwordx2 s[10:11], s[4:5], 0xd30
	s_load_dwordx2 s[2:3], s[4:5], s1 offset:0x370
	s_load_dwordx2 s[14:15], s[4:5], s1 offset:0x0
	s_waitcnt lgkmcnt(0)
	s_ashr_i32 s1, s0, 31
	s_lshl_b64 s[16:17], s[0:1], 18
	s_lshl_b64 s[0:1], s[0:1], 16
	s_and_b32 s6, s14, 15
	s_sub_u32 s12, s2, s0
	s_subb_u32 s13, s3, s1
	s_and_b32 s0, s2, 3
	s_mov_b32 s1, s7
	s_or_b64 s[0:1], s[6:7], s[0:1]
	s_cmp_eq_u64 s[0:1], 0
	s_cbranch_scc1 .LBB54_21
; %bb.1:
	v_cmp_lt_i64_e64 s[0:1], s[12:13], 1
	s_and_b64 vcc, exec, s[0:1]
	s_cbranch_vccnz .LBB54_20
; %bb.2:
	s_load_dword s0, s[4:5], 0xd4c
	v_mov_b32_e32 v2, 0x10000
	v_mov_b32_e32 v3, 0
	v_cmp_lt_u64_e32 vcc, s[12:13], v[2:3]
	v_lshlrev_b32_e32 v2, 2, v0
	s_waitcnt lgkmcnt(0)
	s_and_b32 s3, s0, 0xffff
	s_and_b64 s[0:1], vcc, exec
	s_cselect_b32 s19, s13, 0
	s_cselect_b32 s18, s12, 0x10000
	s_lshl_b32 s6, s3, 1
	s_lshl_b32 s25, s3, 2
	s_add_u32 s7, s14, s16
	s_addc_u32 s8, s15, s17
	v_mov_b32_e32 v3, s8
	v_add_co_u32_e32 v2, vcc, s7, v2
	s_mul_i32 s0, s3, 3
	v_addc_co_u32_e32 v3, vcc, 0, v3, vcc
	v_add_co_u32_e32 v8, vcc, s0, v0
	v_addc_co_u32_e64 v9, s[0:1], 0, 0, vcc
	v_add_co_u32_e32 v10, vcc, s6, v0
	v_addc_co_u32_e64 v11, s[0:1], 0, 0, vcc
	v_add_co_u32_e32 v12, vcc, s3, v0
	v_lshlrev_b32_e32 v4, 2, v12
	s_mov_b32 s2, 0
	v_addc_co_u32_e64 v13, s[0:1], 0, 0, vcc
	v_mov_b32_e32 v5, s8
	v_add_co_u32_e32 v4, vcc, s7, v4
	v_mov_b32_e32 v1, 0
	s_lshl_b32 s26, s3, 4
	s_mul_i32 s27, s3, 12
	s_mov_b32 s28, s2
	s_lshl_b32 s29, s3, 3
	s_mov_b32 s30, s2
	v_addc_co_u32_e32 v5, vcc, 0, v5, vcc
	s_mov_b64 s[20:21], 0
	v_pk_mov_b32 v[6:7], s[12:13], s[12:13] op_sel:[0,1]
	v_mov_b32_e32 v14, s2
	s_branch .LBB54_4
.LBB54_3:                               ;   in Loop: Header=BB54_4 Depth=1
	s_or_b64 exec, exec, s[2:3]
	s_add_u32 s20, s20, s25
	v_mov_b32_e32 v16, 0x10000
	s_addc_u32 s21, s21, 0
	v_mov_b32_e32 v17, 0
	v_cmp_lt_i64_e32 vcc, s[20:21], v[6:7]
	v_cmp_lt_u64_e64 s[0:1], s[20:21], v[16:17]
	s_and_b64 s[0:1], vcc, s[0:1]
	v_add_co_u32_e32 v2, vcc, s26, v2
	v_addc_co_u32_e32 v3, vcc, v3, v14, vcc
	v_add_co_u32_e32 v4, vcc, s26, v4
	v_addc_co_u32_e32 v5, vcc, v5, v14, vcc
	s_and_b64 vcc, exec, s[0:1]
	s_cbranch_vccz .LBB54_20
.LBB54_4:                               ; =>This Inner Loop Header: Depth=1
	v_mov_b32_e32 v15, s21
	v_add_co_u32_e32 v16, vcc, s20, v0
	v_addc_co_u32_e32 v17, vcc, 0, v15, vcc
	v_cmp_gt_u64_e32 vcc, s[18:19], v[16:17]
	v_mov_b32_e32 v18, 0
	s_and_saveexec_b64 s[0:1], vcc
	s_cbranch_execz .LBB54_6
; %bb.5:                                ;   in Loop: Header=BB54_4 Depth=1
	global_load_dword v18, v[2:3], off
.LBB54_6:                               ;   in Loop: Header=BB54_4 Depth=1
	s_or_b64 exec, exec, s[0:1]
	v_mov_b32_e32 v15, s21
	v_add_co_u32_e64 v16, s[0:1], s20, v12
	v_addc_co_u32_e64 v17, s[0:1], v13, v15, s[0:1]
	v_cmp_gt_u64_e64 s[6:7], s[18:19], v[16:17]
	v_mov_b32_e32 v15, 0
	v_mov_b32_e32 v17, 0
	s_and_saveexec_b64 s[0:1], s[6:7]
	s_cbranch_execz .LBB54_8
; %bb.7:                                ;   in Loop: Header=BB54_4 Depth=1
	global_load_dword v17, v[4:5], off
.LBB54_8:                               ;   in Loop: Header=BB54_4 Depth=1
	s_or_b64 exec, exec, s[0:1]
	v_mov_b32_e32 v16, s21
	v_add_co_u32_e64 v20, s[0:1], s20, v10
	v_addc_co_u32_e64 v21, s[0:1], v11, v16, s[0:1]
	v_cmp_gt_u64_e64 s[2:3], s[18:19], v[20:21]
	s_and_saveexec_b64 s[8:9], s[2:3]
	s_cbranch_execz .LBB54_10
; %bb.9:                                ;   in Loop: Header=BB54_4 Depth=1
	v_mov_b32_e32 v15, s30
	v_add_co_u32_e64 v20, s[0:1], s29, v2
	v_addc_co_u32_e64 v21, s[0:1], v3, v15, s[0:1]
	global_load_dword v15, v[20:21], off
.LBB54_10:                              ;   in Loop: Header=BB54_4 Depth=1
	s_or_b64 exec, exec, s[8:9]
	v_mov_b32_e32 v16, s21
	v_add_co_u32_e64 v20, s[0:1], s20, v8
	v_addc_co_u32_e64 v21, s[0:1], v9, v16, s[0:1]
	v_cmp_gt_u64_e64 s[0:1], s[18:19], v[20:21]
	v_mov_b32_e32 v16, 0
	s_and_saveexec_b64 s[22:23], s[0:1]
	s_cbranch_execz .LBB54_12
; %bb.11:                               ;   in Loop: Header=BB54_4 Depth=1
	v_mov_b32_e32 v16, s28
	v_add_co_u32_e64 v20, s[8:9], s27, v2
	v_addc_co_u32_e64 v21, s[8:9], v3, v16, s[8:9]
	global_load_dword v16, v[20:21], off
.LBB54_12:                              ;   in Loop: Header=BB54_4 Depth=1
	s_or_b64 exec, exec, s[22:23]
	global_load_dword v19, v1, s[10:11]
	s_waitcnt vmcnt(0)
	v_mul_f32_e32 v19, s24, v19
	s_and_saveexec_b64 s[8:9], vcc
	s_cbranch_execnz .LBB54_16
; %bb.13:                               ;   in Loop: Header=BB54_4 Depth=1
	s_or_b64 exec, exec, s[8:9]
	s_and_saveexec_b64 s[8:9], s[6:7]
	s_cbranch_execnz .LBB54_17
.LBB54_14:                              ;   in Loop: Header=BB54_4 Depth=1
	s_or_b64 exec, exec, s[8:9]
	s_and_saveexec_b64 s[6:7], s[2:3]
	s_cbranch_execnz .LBB54_18
.LBB54_15:                              ;   in Loop: Header=BB54_4 Depth=1
	s_or_b64 exec, exec, s[6:7]
	s_and_saveexec_b64 s[2:3], s[0:1]
	s_cbranch_execz .LBB54_3
	s_branch .LBB54_19
.LBB54_16:                              ;   in Loop: Header=BB54_4 Depth=1
	v_div_scale_f32 v20, s[22:23], v19, v19, v18
	v_rcp_f32_e32 v21, v20
	v_div_scale_f32 v22, vcc, v18, v19, v18
	v_fma_f32 v23, -v20, v21, 1.0
	v_fmac_f32_e32 v21, v23, v21
	v_mul_f32_e32 v23, v22, v21
	v_fma_f32 v24, -v20, v23, v22
	v_fmac_f32_e32 v23, v24, v21
	v_fma_f32 v20, -v20, v23, v22
	v_div_fmas_f32 v20, v20, v21, v23
	v_div_fixup_f32 v18, v20, v19, v18
	global_store_dword v[2:3], v18, off
	s_or_b64 exec, exec, s[8:9]
	s_and_saveexec_b64 s[8:9], s[6:7]
	s_cbranch_execz .LBB54_14
.LBB54_17:                              ;   in Loop: Header=BB54_4 Depth=1
	v_div_scale_f32 v18, s[6:7], v19, v19, v17
	v_rcp_f32_e32 v20, v18
	v_div_scale_f32 v21, vcc, v17, v19, v17
	v_fma_f32 v22, -v18, v20, 1.0
	v_fmac_f32_e32 v20, v22, v20
	v_mul_f32_e32 v22, v21, v20
	v_fma_f32 v23, -v18, v22, v21
	v_fmac_f32_e32 v22, v23, v20
	v_fma_f32 v18, -v18, v22, v21
	v_div_fmas_f32 v18, v18, v20, v22
	v_div_fixup_f32 v17, v18, v19, v17
	global_store_dword v[4:5], v17, off
	s_or_b64 exec, exec, s[8:9]
	s_and_saveexec_b64 s[6:7], s[2:3]
	s_cbranch_execz .LBB54_15
.LBB54_18:                              ;   in Loop: Header=BB54_4 Depth=1
	v_div_scale_f32 v17, s[2:3], v19, v19, v15
	v_rcp_f32_e32 v18, v17
	v_div_scale_f32 v20, vcc, v15, v19, v15
	v_fma_f32 v21, -v17, v18, 1.0
	v_fmac_f32_e32 v18, v21, v18
	v_mul_f32_e32 v21, v20, v18
	v_fma_f32 v22, -v17, v21, v20
	v_fmac_f32_e32 v21, v22, v18
	v_fma_f32 v17, -v17, v21, v20
	v_div_fmas_f32 v17, v17, v18, v21
	v_div_fixup_f32 v15, v17, v19, v15
	v_mov_b32_e32 v17, s30
	v_add_co_u32_e32 v20, vcc, s29, v2
	v_addc_co_u32_e32 v21, vcc, v3, v17, vcc
	global_store_dword v[20:21], v15, off
	s_or_b64 exec, exec, s[6:7]
	s_and_saveexec_b64 s[2:3], s[0:1]
	s_cbranch_execz .LBB54_3
.LBB54_19:                              ;   in Loop: Header=BB54_4 Depth=1
	v_div_scale_f32 v15, s[0:1], v19, v19, v16
	v_rcp_f32_e32 v17, v15
	v_div_scale_f32 v18, vcc, v16, v19, v16
	v_fma_f32 v20, -v15, v17, 1.0
	v_fmac_f32_e32 v17, v20, v17
	v_mul_f32_e32 v20, v18, v17
	v_fma_f32 v21, -v15, v20, v18
	v_fmac_f32_e32 v20, v21, v17
	v_fma_f32 v15, -v15, v20, v18
	v_div_fmas_f32 v15, v15, v17, v20
	v_div_fixup_f32 v15, v15, v19, v16
	v_mov_b32_e32 v17, s28
	v_add_co_u32_e32 v16, vcc, s27, v2
	v_addc_co_u32_e32 v17, vcc, v3, v17, vcc
	global_store_dword v[16:17], v15, off
	s_branch .LBB54_3
.LBB54_20:
	s_cbranch_execz .LBB54_22
	s_branch .LBB54_25
.LBB54_21:
.LBB54_22:
	v_mov_b32_e32 v3, 0
	v_lshlrev_b32_e32 v2, 2, v0
	s_mov_b32 s0, 0
	v_cmp_gt_i64_e32 vcc, s[12:13], v[2:3]
	s_and_saveexec_b64 s[2:3], vcc
	s_cbranch_execz .LBB54_25
; %bb.23:
	s_load_dword s1, s[4:5], 0xd4c
	v_lshlrev_b32_e32 v1, 4, v0
	s_mov_b64 s[6:7], 0
	s_mov_b64 s[8:9], 0xffff
	v_mov_b32_e32 v6, s0
	s_waitcnt lgkmcnt(0)
	s_and_b32 s1, s1, 0xffff
	s_add_u32 s2, s14, s16
	s_addc_u32 s3, s15, s17
	v_mov_b32_e32 v2, s3
	v_add_co_u32_e32 v1, vcc, s2, v1
	v_addc_co_u32_e32 v2, vcc, 0, v2, vcc
	v_add_co_u32_e32 v4, vcc, 8, v1
	v_addc_co_u32_e32 v5, vcc, 0, v2, vcc
	v_add_lshl_u32 v2, v0, s1, 2
	s_lshl_b32 s14, s1, 4
	s_lshl_b32 s15, s1, 2
	v_mov_b32_e32 v7, s0
	v_pk_mov_b32 v[0:1], v[2:3], v[2:3] op_sel:[0,1]
.LBB54_24:                              ; =>This Inner Loop Header: Depth=1
	global_load_dword v2, v3, s[10:11]
	global_load_dwordx4 v[8:11], v[4:5], off offset:-8
	v_cmp_le_i64_e32 vcc, s[12:13], v[0:1]
	v_cmp_lt_u64_e64 s[0:1], s[8:9], v[0:1]
	s_or_b64 s[0:1], vcc, s[0:1]
	s_and_b64 s[0:1], exec, s[0:1]
	s_or_b64 s[6:7], s[0:1], s[6:7]
	s_waitcnt vmcnt(1)
	v_mul_f32_e32 v2, s24, v2
	s_waitcnt vmcnt(0)
	v_div_scale_f32 v12, s[0:1], v2, v2, v9
	v_div_scale_f32 v14, s[0:1], v2, v2, v8
	v_rcp_f32_e32 v20, v12
	v_div_scale_f32 v16, s[2:3], v2, v2, v11
	v_rcp_f32_e32 v21, v14
	;; [unrolled: 2-line block ×3, first 2 shown]
	v_rcp_f32_e32 v23, v18
	v_fma_f32 v24, -v12, v20, 1.0
	v_div_scale_f32 v13, vcc, v9, v2, v9
	v_fma_f32 v25, -v14, v21, 1.0
	v_fmac_f32_e32 v20, v24, v20
	v_div_scale_f32 v15, s[0:1], v8, v2, v8
	v_fma_f32 v26, -v16, v22, 1.0
	v_fmac_f32_e32 v21, v25, v21
	v_mul_f32_e32 v24, v13, v20
	v_div_scale_f32 v17, s[2:3], v11, v2, v11
	v_fma_f32 v27, -v18, v23, 1.0
	v_fmac_f32_e32 v22, v26, v22
	v_mul_f32_e32 v25, v15, v21
	v_fma_f32 v28, -v12, v24, v13
	v_div_scale_f32 v19, s[4:5], v10, v2, v10
	v_fmac_f32_e32 v23, v27, v23
	v_mul_f32_e32 v26, v17, v22
	v_fma_f32 v29, -v14, v25, v15
	v_fmac_f32_e32 v24, v28, v20
	v_mul_f32_e32 v27, v19, v23
	v_fma_f32 v30, -v16, v26, v17
	v_fmac_f32_e32 v25, v29, v21
	v_fma_f32 v12, -v12, v24, v13
	v_fma_f32 v31, -v18, v27, v19
	v_fmac_f32_e32 v26, v30, v22
	v_fma_f32 v13, -v14, v25, v15
	v_div_fmas_f32 v12, v12, v20, v24
	s_mov_b64 vcc, s[0:1]
	v_fmac_f32_e32 v27, v31, v23
	v_fma_f32 v14, -v16, v26, v17
	v_div_fixup_f32 v9, v12, v2, v9
	v_div_fmas_f32 v12, v13, v21, v25
	s_mov_b64 vcc, s[2:3]
	v_fma_f32 v15, -v18, v27, v19
	v_div_fixup_f32 v8, v12, v2, v8
	v_div_fmas_f32 v12, v14, v22, v26
	s_mov_b64 vcc, s[4:5]
	v_div_fixup_f32 v11, v12, v2, v11
	v_div_fmas_f32 v12, v15, v23, v27
	v_div_fixup_f32 v10, v12, v2, v10
	global_store_dwordx4 v[4:5], v[8:11], off offset:-8
	v_add_co_u32_e32 v4, vcc, s14, v4
	v_addc_co_u32_e32 v5, vcc, v5, v6, vcc
	v_add_co_u32_e32 v0, vcc, s15, v0
	v_addc_co_u32_e32 v1, vcc, v1, v7, vcc
	s_andn2_b64 exec, exec, s[6:7]
	s_cbranch_execnz .LBB54_24
.LBB54_25:
	s_endpgm
	.section	.rodata,"a",@progbits
	.p2align	6, 0x0
	.amdhsa_kernel _ZN2at6native12_GLOBAL__N_125multi_tensor_apply_kernelINS1_18TensorListMetadataILi1EEENS1_27BinaryOpScalarTensorFunctorIfLi1ELi1ELi0EEEJSt7dividesIfEPffEEEvT_T0_DpT1_
		.amdhsa_group_segment_fixed_size 0
		.amdhsa_private_segment_fixed_size 0
		.amdhsa_kernarg_size 3648
		.amdhsa_user_sgpr_count 6
		.amdhsa_user_sgpr_private_segment_buffer 1
		.amdhsa_user_sgpr_dispatch_ptr 0
		.amdhsa_user_sgpr_queue_ptr 0
		.amdhsa_user_sgpr_kernarg_segment_ptr 1
		.amdhsa_user_sgpr_dispatch_id 0
		.amdhsa_user_sgpr_flat_scratch_init 0
		.amdhsa_user_sgpr_kernarg_preload_length 0
		.amdhsa_user_sgpr_kernarg_preload_offset 0
		.amdhsa_user_sgpr_private_segment_size 0
		.amdhsa_uses_dynamic_stack 0
		.amdhsa_system_sgpr_private_segment_wavefront_offset 0
		.amdhsa_system_sgpr_workgroup_id_x 1
		.amdhsa_system_sgpr_workgroup_id_y 0
		.amdhsa_system_sgpr_workgroup_id_z 0
		.amdhsa_system_sgpr_workgroup_info 0
		.amdhsa_system_vgpr_workitem_id 0
		.amdhsa_next_free_vgpr 32
		.amdhsa_next_free_sgpr 31
		.amdhsa_accum_offset 32
		.amdhsa_reserve_vcc 1
		.amdhsa_reserve_flat_scratch 0
		.amdhsa_float_round_mode_32 0
		.amdhsa_float_round_mode_16_64 0
		.amdhsa_float_denorm_mode_32 3
		.amdhsa_float_denorm_mode_16_64 3
		.amdhsa_dx10_clamp 1
		.amdhsa_ieee_mode 1
		.amdhsa_fp16_overflow 0
		.amdhsa_tg_split 0
		.amdhsa_exception_fp_ieee_invalid_op 0
		.amdhsa_exception_fp_denorm_src 0
		.amdhsa_exception_fp_ieee_div_zero 0
		.amdhsa_exception_fp_ieee_overflow 0
		.amdhsa_exception_fp_ieee_underflow 0
		.amdhsa_exception_fp_ieee_inexact 0
		.amdhsa_exception_int_div_zero 0
	.end_amdhsa_kernel
	.section	.text._ZN2at6native12_GLOBAL__N_125multi_tensor_apply_kernelINS1_18TensorListMetadataILi1EEENS1_27BinaryOpScalarTensorFunctorIfLi1ELi1ELi0EEEJSt7dividesIfEPffEEEvT_T0_DpT1_,"axG",@progbits,_ZN2at6native12_GLOBAL__N_125multi_tensor_apply_kernelINS1_18TensorListMetadataILi1EEENS1_27BinaryOpScalarTensorFunctorIfLi1ELi1ELi0EEEJSt7dividesIfEPffEEEvT_T0_DpT1_,comdat
.Lfunc_end54:
	.size	_ZN2at6native12_GLOBAL__N_125multi_tensor_apply_kernelINS1_18TensorListMetadataILi1EEENS1_27BinaryOpScalarTensorFunctorIfLi1ELi1ELi0EEEJSt7dividesIfEPffEEEvT_T0_DpT1_, .Lfunc_end54-_ZN2at6native12_GLOBAL__N_125multi_tensor_apply_kernelINS1_18TensorListMetadataILi1EEENS1_27BinaryOpScalarTensorFunctorIfLi1ELi1ELi0EEEJSt7dividesIfEPffEEEvT_T0_DpT1_
                                        ; -- End function
	.section	.AMDGPU.csdata,"",@progbits
; Kernel info:
; codeLenInByte = 1608
; NumSgprs: 35
; NumVgprs: 32
; NumAgprs: 0
; TotalNumVgprs: 32
; ScratchSize: 0
; MemoryBound: 0
; FloatMode: 240
; IeeeMode: 1
; LDSByteSize: 0 bytes/workgroup (compile time only)
; SGPRBlocks: 4
; VGPRBlocks: 3
; NumSGPRsForWavesPerEU: 35
; NumVGPRsForWavesPerEU: 32
; AccumOffset: 32
; Occupancy: 8
; WaveLimiterHint : 0
; COMPUTE_PGM_RSRC2:SCRATCH_EN: 0
; COMPUTE_PGM_RSRC2:USER_SGPR: 6
; COMPUTE_PGM_RSRC2:TRAP_HANDLER: 0
; COMPUTE_PGM_RSRC2:TGID_X_EN: 1
; COMPUTE_PGM_RSRC2:TGID_Y_EN: 0
; COMPUTE_PGM_RSRC2:TGID_Z_EN: 0
; COMPUTE_PGM_RSRC2:TIDIG_COMP_CNT: 0
; COMPUTE_PGM_RSRC3_GFX90A:ACCUM_OFFSET: 7
; COMPUTE_PGM_RSRC3_GFX90A:TG_SPLIT: 0
	.section	.text._ZN2at6native12_GLOBAL__N_125multi_tensor_apply_kernelINS1_18TensorListMetadataILi1EEENS1_27BinaryOpScalarTensorFunctorIN3c107complexIdEELi1ELi1ELi0EEEJSt7dividesIS8_EPS8_S8_EEEvT_T0_DpT1_,"axG",@progbits,_ZN2at6native12_GLOBAL__N_125multi_tensor_apply_kernelINS1_18TensorListMetadataILi1EEENS1_27BinaryOpScalarTensorFunctorIN3c107complexIdEELi1ELi1ELi0EEEJSt7dividesIS8_EPS8_S8_EEEvT_T0_DpT1_,comdat
	.globl	_ZN2at6native12_GLOBAL__N_125multi_tensor_apply_kernelINS1_18TensorListMetadataILi1EEENS1_27BinaryOpScalarTensorFunctorIN3c107complexIdEELi1ELi1ELi0EEEJSt7dividesIS8_EPS8_S8_EEEvT_T0_DpT1_ ; -- Begin function _ZN2at6native12_GLOBAL__N_125multi_tensor_apply_kernelINS1_18TensorListMetadataILi1EEENS1_27BinaryOpScalarTensorFunctorIN3c107complexIdEELi1ELi1ELi0EEEJSt7dividesIS8_EPS8_S8_EEEvT_T0_DpT1_
	.p2align	8
	.type	_ZN2at6native12_GLOBAL__N_125multi_tensor_apply_kernelINS1_18TensorListMetadataILi1EEENS1_27BinaryOpScalarTensorFunctorIN3c107complexIdEELi1ELi1ELi0EEEJSt7dividesIS8_EPS8_S8_EEEvT_T0_DpT1_,@function
_ZN2at6native12_GLOBAL__N_125multi_tensor_apply_kernelINS1_18TensorListMetadataILi1EEENS1_27BinaryOpScalarTensorFunctorIN3c107complexIdEELi1ELi1ELi0EEEJSt7dividesIS8_EPS8_S8_EEEvT_T0_DpT1_: ; @_ZN2at6native12_GLOBAL__N_125multi_tensor_apply_kernelINS1_18TensorListMetadataILi1EEENS1_27BinaryOpScalarTensorFunctorIN3c107complexIdEELi1ELi1ELi0EEEJSt7dividesIS8_EPS8_S8_EEEvT_T0_DpT1_
; %bb.0:
	v_mov_b32_e32 v1, s6
	global_load_ubyte v1, v1, s[4:5] offset:1760
	s_add_u32 s0, s4, s6
	s_mul_hi_u32 s1, s6, 3
	s_mul_i32 s6, s6, 3
	s_addc_u32 s2, s5, 0
	s_add_u32 s0, s0, s6
	s_addc_u32 s1, s2, s1
	s_load_dword s0, s[0:1], 0x820
	s_mov_b32 s7, 0
	s_load_dwordx4 s[20:23], s[4:5], 0xd40
	s_waitcnt vmcnt(0)
	v_readfirstlane_b32 s1, v1
	s_lshl_b32 s1, s1, 3
	s_load_dwordx2 s[26:27], s[4:5], s1 offset:0x0
	s_load_dwordx2 s[18:19], s[4:5], 0xd30
	s_load_dwordx2 s[2:3], s[4:5], s1 offset:0x370
	s_waitcnt lgkmcnt(0)
	s_ashr_i32 s1, s0, 31
	s_lshl_b64 s[28:29], s[0:1], 20
	s_add_u32 s33, s26, s28
	s_addc_u32 s38, s27, s29
	s_lshl_b64 s[0:1], s[0:1], 16
	s_and_b32 s6, s33, 63
	s_sub_u32 s24, s2, s0
	s_subb_u32 s25, s3, s1
	s_and_b32 s0, s2, 3
	s_mov_b32 s1, s7
	s_or_b64 s[0:1], s[6:7], s[0:1]
	s_cmp_eq_u64 s[0:1], 0
	s_cbranch_scc1 .LBB55_53
; %bb.1:
	v_cmp_lt_i64_e64 s[0:1], s[24:25], 1
	s_and_b64 vcc, exec, s[0:1]
	s_cbranch_vccnz .LBB55_52
; %bb.2:
	s_load_dword s0, s[4:5], 0xd5c
	v_mov_b32_e32 v2, 0x10000
	v_mov_b32_e32 v3, 0
	v_cmp_lt_u64_e32 vcc, s[24:25], v[2:3]
	v_mov_b32_e32 v23, 0
	s_waitcnt lgkmcnt(0)
	s_and_b32 s2, s0, 0xffff
	s_and_b64 s[0:1], vcc, exec
	s_mul_i32 s6, s2, 3
	v_add_co_u32_e32 v27, vcc, s2, v0
	v_lshlrev_b32_e32 v22, 4, v0
	v_addc_co_u32_e64 v29, s[0:1], 0, 0, vcc
	v_add_co_u32_e32 v44, vcc, s6, v0
	v_mad_u64_u32 v[24:25], s[0:1], s2, 48, v[22:23]
	v_addc_co_u32_e64 v45, s[0:1], 0, 0, vcc
	s_cselect_b32 s31, s25, 0
	s_cselect_b32 s30, s24, 0x10000
	s_lshl_b32 s0, s2, 5
	s_lshl_b32 s3, s2, 1
	v_add_co_u32_e32 v2, vcc, s0, v22
	v_addc_co_u32_e64 v1, s[0:1], 0, 0, vcc
	v_add_co_u32_e32 v46, vcc, s3, v0
	s_lshl_b32 s39, s2, 2
	s_lshl_b32 s40, s2, 6
	v_or_b32_e32 v24, 8, v24
	v_lshlrev_b32_e32 v26, 4, v27
	v_or_b32_e32 v28, 8, v2
	v_addc_co_u32_e64 v47, s[0:1], 0, 0, vcc
	s_mov_b64 s[34:35], 0
	s_branch .LBB55_4
.LBB55_3:                               ;   in Loop: Header=BB55_4 Depth=1
	s_or_b64 exec, exec, s[0:1]
	s_add_u32 s34, s34, s39
	s_addc_u32 s35, s35, 0
	v_pk_mov_b32 v[2:3], s[24:25], s[24:25] op_sel:[0,1]
	v_cmp_ge_i64_e32 vcc, s[34:35], v[2:3]
	v_mov_b32_e32 v2, 0xffff
	v_mov_b32_e32 v3, 0
	v_cmp_gt_u64_e64 s[0:1], s[34:35], v[2:3]
	s_or_b64 s[0:1], vcc, s[0:1]
	s_add_u32 s33, s33, s40
	s_addc_u32 s38, s38, 0
	s_and_b64 vcc, exec, s[0:1]
	s_cbranch_vccnz .LBB55_52
.LBB55_4:                               ; =>This Inner Loop Header: Depth=1
	v_mov_b32_e32 v3, s35
	v_add_co_u32_e32 v2, vcc, s34, v0
	v_addc_co_u32_e32 v3, vcc, 0, v3, vcc
	v_pk_mov_b32 v[12:13], 0, 0
	v_cmp_gt_u64_e64 s[0:1], s[30:31], v[2:3]
	v_pk_mov_b32 v[20:21], v[12:13], v[12:13] op_sel:[0,1]
	v_pk_mov_b32 v[18:19], v[12:13], v[12:13] op_sel:[0,1]
	s_and_saveexec_b64 s[2:3], s[0:1]
	s_cbranch_execz .LBB55_6
; %bb.5:                                ;   in Loop: Header=BB55_4 Depth=1
	v_mov_b32_e32 v3, s38
	v_add_co_u32_e32 v2, vcc, s33, v22
	v_addc_co_u32_e32 v3, vcc, 0, v3, vcc
	global_load_dwordx4 v[18:21], v[2:3], off
.LBB55_6:                               ;   in Loop: Header=BB55_4 Depth=1
	s_or_b64 exec, exec, s[2:3]
	v_mov_b32_e32 v3, s35
	v_add_co_u32_e32 v2, vcc, s34, v27
	v_addc_co_u32_e32 v3, vcc, v29, v3, vcc
	v_cmp_gt_u64_e64 s[2:3], s[30:31], v[2:3]
	v_pk_mov_b32 v[10:11], v[12:13], v[12:13] op_sel:[0,1]
	s_and_saveexec_b64 s[6:7], s[2:3]
	s_cbranch_execz .LBB55_8
; %bb.7:                                ;   in Loop: Header=BB55_4 Depth=1
	v_mov_b32_e32 v3, s38
	v_add_co_u32_e32 v2, vcc, s33, v26
	v_addc_co_u32_e32 v3, vcc, 0, v3, vcc
	global_load_dwordx4 v[10:13], v[2:3], off
.LBB55_8:                               ;   in Loop: Header=BB55_4 Depth=1
	s_or_b64 exec, exec, s[6:7]
	v_mov_b32_e32 v3, s35
	v_add_co_u32_e32 v2, vcc, s34, v46
	v_addc_co_u32_e32 v3, vcc, v47, v3, vcc
	v_pk_mov_b32 v[4:5], 0, 0
	v_cmp_gt_u64_e64 s[6:7], s[30:31], v[2:3]
	v_pk_mov_b32 v[8:9], v[4:5], v[4:5] op_sel:[0,1]
	v_pk_mov_b32 v[6:7], v[4:5], v[4:5] op_sel:[0,1]
	s_and_saveexec_b64 s[8:9], s[6:7]
	s_cbranch_execz .LBB55_10
; %bb.9:                                ;   in Loop: Header=BB55_4 Depth=1
	v_mov_b32_e32 v3, s38
	v_add_co_u32_e32 v2, vcc, s33, v28
	v_addc_co_u32_e32 v3, vcc, v3, v1, vcc
	global_load_dwordx4 v[6:9], v[2:3], off offset:-8
.LBB55_10:                              ;   in Loop: Header=BB55_4 Depth=1
	s_or_b64 exec, exec, s[8:9]
	v_mov_b32_e32 v3, s35
	v_add_co_u32_e32 v2, vcc, s34, v44
	v_addc_co_u32_e32 v3, vcc, v45, v3, vcc
	v_cmp_gt_u64_e64 s[8:9], s[30:31], v[2:3]
	v_pk_mov_b32 v[2:3], v[4:5], v[4:5] op_sel:[0,1]
	s_and_saveexec_b64 s[10:11], s[8:9]
	s_cbranch_execz .LBB55_12
; %bb.11:                               ;   in Loop: Header=BB55_4 Depth=1
	v_mov_b32_e32 v3, s38
	v_add_co_u32_e32 v2, vcc, s33, v24
	v_addc_co_u32_e32 v3, vcc, v3, v25, vcc
	global_load_dwordx4 v[2:5], v[2:3], off offset:-8
.LBB55_12:                              ;   in Loop: Header=BB55_4 Depth=1
	s_or_b64 exec, exec, s[10:11]
	global_load_dwordx4 v[14:17], v23, s[18:19]
	s_waitcnt vmcnt(0)
	v_mul_f64 v[30:31], s[22:23], v[16:17]
	v_mul_f64 v[40:41], s[20:21], v[16:17]
	v_fma_f64 v[16:17], s[20:21], v[14:15], -v[30:31]
	v_fmac_f64_e32 v[40:41], s[22:23], v[14:15]
	v_div_scale_f64 v[14:15], s[12:13], v[16:17], v[16:17], v[40:41]
	v_rcp_f64_e32 v[36:37], v[14:15]
	v_div_scale_f64 v[34:35], s[14:15], v[40:41], v[16:17], v[40:41]
	v_cmp_neq_f64_e32 vcc, 0, v[16:17]
	v_fma_f64 v[50:51], -v[14:15], v[36:37], 1.0
	v_fmac_f64_e32 v[36:37], v[36:37], v[50:51]
	v_fma_f64 v[50:51], -v[14:15], v[36:37], 1.0
	v_fmac_f64_e32 v[36:37], v[36:37], v[50:51]
	v_cmp_neq_f64_e64 s[10:11], 0, v[40:41]
	v_mul_f64 v[50:51], v[34:35], v[36:37]
	s_or_b64 s[36:37], vcc, s[10:11]
	v_fma_f64 v[14:15], -v[14:15], v[50:51], v[34:35]
	s_mov_b64 vcc, s[14:15]
	v_div_fmas_f64 v[14:15], v[14:15], v[36:37], v[50:51]
	v_div_scale_f64 v[38:39], s[12:13], v[40:41], v[40:41], v[16:17]
	v_div_fixup_f64 v[36:37], v[14:15], v[16:17], v[40:41]
	v_rcp_f64_e32 v[48:49], v[38:39]
	v_fma_f64 v[14:15], v[40:41], v[36:37], v[16:17]
	v_div_scale_f64 v[34:35], s[14:15], v[14:15], v[14:15], 1.0
	v_rcp_f64_e32 v[50:51], v[34:35]
	v_fma_f64 v[52:53], -v[38:39], v[48:49], 1.0
	v_fmac_f64_e32 v[48:49], v[48:49], v[52:53]
	v_fma_f64 v[52:53], -v[38:39], v[48:49], 1.0
	v_fma_f64 v[54:55], -v[34:35], v[50:51], 1.0
	v_div_scale_f64 v[42:43], s[16:17], v[16:17], v[40:41], v[16:17]
	v_fmac_f64_e32 v[48:49], v[48:49], v[52:53]
	v_fmac_f64_e32 v[50:51], v[50:51], v[54:55]
	v_mul_f64 v[52:53], v[42:43], v[48:49]
	v_fma_f64 v[54:55], -v[34:35], v[50:51], 1.0
	v_fma_f64 v[38:39], -v[38:39], v[52:53], v[42:43]
	v_div_scale_f64 v[42:43], vcc, 1.0, v[14:15], 1.0
	v_fmac_f64_e32 v[50:51], v[50:51], v[54:55]
	v_mul_f64 v[54:55], v[42:43], v[50:51]
	v_fma_f64 v[34:35], -v[34:35], v[54:55], v[42:43]
	s_nop 0
	v_div_fmas_f64 v[42:43], v[34:35], v[50:51], v[54:55]
	s_mov_b64 vcc, s[16:17]
	v_xor_b32_e32 v30, 0x80000000, v17
	v_cmp_gt_f64_e64 s[12:13], 0, v[16:17]
	v_div_fmas_f64 v[34:35], v[38:39], v[48:49], v[52:53]
	v_xor_b32_e32 v31, 0x80000000, v41
	v_cndmask_b32_e64 v33, v17, v30, s[12:13]
	v_cndmask_b32_e64 v32, v16, v16, s[12:13]
	v_cmp_gt_f64_e64 s[12:13], 0, v[40:41]
	v_div_fixup_f64 v[34:35], v[34:35], v[40:41], v[16:17]
	v_cndmask_b32_e64 v31, v41, v31, s[12:13]
	v_cndmask_b32_e64 v30, v40, v40, s[12:13]
	v_fmac_f64_e32 v[40:41], v[16:17], v[34:35]
	v_div_scale_f64 v[16:17], s[14:15], v[40:41], v[40:41], 1.0
	v_rcp_f64_e32 v[48:49], v[16:17]
	v_div_fixup_f64 v[38:39], v[42:43], v[14:15], 1.0
	v_div_scale_f64 v[14:15], vcc, 1.0, v[40:41], 1.0
	v_fma_f64 v[42:43], -v[16:17], v[48:49], 1.0
	v_fmac_f64_e32 v[48:49], v[48:49], v[42:43]
	v_fma_f64 v[42:43], -v[16:17], v[48:49], 1.0
	v_fmac_f64_e32 v[48:49], v[48:49], v[42:43]
	v_cmp_ge_f64_e64 s[12:13], v[32:33], v[30:31]
	v_mul_f64 v[42:43], v[14:15], v[48:49]
	s_and_b64 s[10:11], exec, s[12:13]
	v_fma_f64 v[14:15], -v[16:17], v[42:43], v[14:15]
	v_div_fmas_f64 v[42:43], v[14:15], v[48:49], v[42:43]
	s_mov_b64 vcc, s[10:11]
	s_cbranch_vccz .LBB55_15
; %bb.13:                               ;   in Loop: Header=BB55_4 Depth=1
	s_and_b64 vcc, exec, s[36:37]
	s_cbranch_vccz .LBB55_16
; %bb.14:                               ;   in Loop: Header=BB55_4 Depth=1
	v_fma_f64 v[14:15], v[20:21], v[36:37], v[18:19]
	v_fma_f64 v[16:17], -v[18:19], v[36:37], v[20:21]
	v_mul_f64 v[14:15], v[14:15], v[38:39]
	v_mul_f64 v[16:17], v[16:17], v[38:39]
	s_cbranch_execz .LBB55_17
	s_branch .LBB55_18
.LBB55_15:                              ;   in Loop: Header=BB55_4 Depth=1
                                        ; implicit-def: $vgpr16_vgpr17
	v_div_fixup_f64 v[40:41], v[42:43], v[40:41], 1.0
	s_branch .LBB55_19
.LBB55_16:                              ;   in Loop: Header=BB55_4 Depth=1
                                        ; implicit-def: $vgpr16_vgpr17
.LBB55_17:                              ;   in Loop: Header=BB55_4 Depth=1
	v_div_scale_f64 v[14:15], s[10:11], v[32:33], v[32:33], v[18:19]
	v_rcp_f64_e32 v[16:17], v[14:15]
	v_div_scale_f64 v[48:49], vcc, v[18:19], v[32:33], v[18:19]
	v_fma_f64 v[50:51], -v[14:15], v[16:17], 1.0
	v_fmac_f64_e32 v[16:17], v[16:17], v[50:51]
	v_fma_f64 v[50:51], -v[14:15], v[16:17], 1.0
	v_fmac_f64_e32 v[16:17], v[16:17], v[50:51]
	v_mul_f64 v[50:51], v[48:49], v[16:17]
	v_fma_f64 v[14:15], -v[14:15], v[50:51], v[48:49]
	v_div_scale_f64 v[48:49], s[10:11], v[30:31], v[30:31], v[20:21]
	v_rcp_f64_e32 v[52:53], v[48:49]
	v_div_fmas_f64 v[14:15], v[14:15], v[16:17], v[50:51]
	v_div_fixup_f64 v[14:15], v[14:15], v[32:33], v[18:19]
	v_fma_f64 v[16:17], -v[48:49], v[52:53], 1.0
	v_fmac_f64_e32 v[52:53], v[52:53], v[16:17]
	v_fma_f64 v[16:17], -v[48:49], v[52:53], 1.0
	v_fmac_f64_e32 v[52:53], v[52:53], v[16:17]
	v_div_scale_f64 v[16:17], vcc, v[20:21], v[30:31], v[20:21]
	v_mul_f64 v[50:51], v[16:17], v[52:53]
	v_fma_f64 v[16:17], -v[48:49], v[50:51], v[16:17]
	s_nop 1
	v_div_fmas_f64 v[16:17], v[16:17], v[52:53], v[50:51]
	v_div_fixup_f64 v[16:17], v[16:17], v[30:31], v[20:21]
.LBB55_18:                              ;   in Loop: Header=BB55_4 Depth=1
	v_div_fixup_f64 v[40:41], v[42:43], v[40:41], 1.0
	s_cbranch_execnz .LBB55_20
.LBB55_19:                              ;   in Loop: Header=BB55_4 Depth=1
	v_fma_f64 v[14:15], v[18:19], v[34:35], v[20:21]
	v_fma_f64 v[16:17], v[20:21], v[34:35], -v[18:19]
	v_mul_f64 v[14:15], v[14:15], v[40:41]
	v_mul_f64 v[16:17], v[16:17], v[40:41]
.LBB55_20:                              ;   in Loop: Header=BB55_4 Depth=1
	v_cndmask_b32_e64 v18, 0, 1, s[12:13]
	v_cmp_ne_u32_e64 s[10:11], 1, v18
	v_cndmask_b32_e64 v18, 0, 1, s[36:37]
	s_andn2_b64 vcc, exec, s[12:13]
	v_cmp_ne_u32_e64 s[12:13], 1, v18
	s_cbranch_vccnz .LBB55_23
; %bb.21:                               ;   in Loop: Header=BB55_4 Depth=1
	s_and_b64 vcc, exec, s[12:13]
	s_cbranch_vccnz .LBB55_24
; %bb.22:                               ;   in Loop: Header=BB55_4 Depth=1
	v_fma_f64 v[18:19], v[12:13], v[36:37], v[10:11]
	v_fma_f64 v[20:21], -v[10:11], v[36:37], v[12:13]
	v_mul_f64 v[18:19], v[18:19], v[38:39]
	v_mul_f64 v[20:21], v[20:21], v[38:39]
	s_cbranch_execz .LBB55_25
	s_branch .LBB55_26
.LBB55_23:                              ;   in Loop: Header=BB55_4 Depth=1
                                        ; implicit-def: $vgpr20_vgpr21
	s_branch .LBB55_27
.LBB55_24:                              ;   in Loop: Header=BB55_4 Depth=1
                                        ; implicit-def: $vgpr20_vgpr21
.LBB55_25:                              ;   in Loop: Header=BB55_4 Depth=1
	v_div_scale_f64 v[18:19], s[14:15], v[32:33], v[32:33], v[10:11]
	v_rcp_f64_e32 v[20:21], v[18:19]
	v_div_scale_f64 v[42:43], vcc, v[10:11], v[32:33], v[10:11]
	v_fma_f64 v[48:49], -v[18:19], v[20:21], 1.0
	v_fmac_f64_e32 v[20:21], v[20:21], v[48:49]
	v_fma_f64 v[48:49], -v[18:19], v[20:21], 1.0
	v_fmac_f64_e32 v[20:21], v[20:21], v[48:49]
	v_mul_f64 v[48:49], v[42:43], v[20:21]
	v_fma_f64 v[18:19], -v[18:19], v[48:49], v[42:43]
	v_div_scale_f64 v[42:43], s[14:15], v[30:31], v[30:31], v[12:13]
	v_rcp_f64_e32 v[50:51], v[42:43]
	v_div_fmas_f64 v[18:19], v[18:19], v[20:21], v[48:49]
	v_div_fixup_f64 v[18:19], v[18:19], v[32:33], v[10:11]
	v_fma_f64 v[20:21], -v[42:43], v[50:51], 1.0
	v_fmac_f64_e32 v[50:51], v[50:51], v[20:21]
	v_fma_f64 v[20:21], -v[42:43], v[50:51], 1.0
	v_fmac_f64_e32 v[50:51], v[50:51], v[20:21]
	v_div_scale_f64 v[20:21], vcc, v[12:13], v[30:31], v[12:13]
	v_mul_f64 v[48:49], v[20:21], v[50:51]
	v_fma_f64 v[20:21], -v[42:43], v[48:49], v[20:21]
	s_nop 1
	v_div_fmas_f64 v[20:21], v[20:21], v[50:51], v[48:49]
	v_div_fixup_f64 v[20:21], v[20:21], v[30:31], v[12:13]
.LBB55_26:                              ;   in Loop: Header=BB55_4 Depth=1
	s_cbranch_execnz .LBB55_28
.LBB55_27:                              ;   in Loop: Header=BB55_4 Depth=1
	v_fma_f64 v[18:19], v[10:11], v[34:35], v[12:13]
	v_fma_f64 v[10:11], v[12:13], v[34:35], -v[10:11]
	v_mul_f64 v[18:19], v[18:19], v[40:41]
	v_mul_f64 v[20:21], v[10:11], v[40:41]
.LBB55_28:                              ;   in Loop: Header=BB55_4 Depth=1
	s_and_b64 vcc, exec, s[10:11]
	s_cbranch_vccnz .LBB55_31
; %bb.29:                               ;   in Loop: Header=BB55_4 Depth=1
	s_and_b64 vcc, exec, s[12:13]
	s_cbranch_vccnz .LBB55_32
; %bb.30:                               ;   in Loop: Header=BB55_4 Depth=1
	v_fma_f64 v[10:11], v[8:9], v[36:37], v[6:7]
	v_fma_f64 v[12:13], -v[6:7], v[36:37], v[8:9]
	v_mul_f64 v[10:11], v[10:11], v[38:39]
	v_mul_f64 v[12:13], v[12:13], v[38:39]
	s_cbranch_execz .LBB55_33
	s_branch .LBB55_34
.LBB55_31:                              ;   in Loop: Header=BB55_4 Depth=1
                                        ; implicit-def: $vgpr12_vgpr13
	s_branch .LBB55_35
.LBB55_32:                              ;   in Loop: Header=BB55_4 Depth=1
                                        ; implicit-def: $vgpr12_vgpr13
.LBB55_33:                              ;   in Loop: Header=BB55_4 Depth=1
	v_div_scale_f64 v[10:11], s[14:15], v[32:33], v[32:33], v[6:7]
	v_rcp_f64_e32 v[12:13], v[10:11]
	v_div_scale_f64 v[42:43], vcc, v[6:7], v[32:33], v[6:7]
	v_fma_f64 v[48:49], -v[10:11], v[12:13], 1.0
	v_fmac_f64_e32 v[12:13], v[12:13], v[48:49]
	v_fma_f64 v[48:49], -v[10:11], v[12:13], 1.0
	v_fmac_f64_e32 v[12:13], v[12:13], v[48:49]
	v_mul_f64 v[48:49], v[42:43], v[12:13]
	v_fma_f64 v[10:11], -v[10:11], v[48:49], v[42:43]
	v_div_scale_f64 v[42:43], s[14:15], v[30:31], v[30:31], v[8:9]
	v_rcp_f64_e32 v[50:51], v[42:43]
	v_div_fmas_f64 v[10:11], v[10:11], v[12:13], v[48:49]
	v_div_fixup_f64 v[10:11], v[10:11], v[32:33], v[6:7]
	v_fma_f64 v[12:13], -v[42:43], v[50:51], 1.0
	v_fmac_f64_e32 v[50:51], v[50:51], v[12:13]
	v_fma_f64 v[12:13], -v[42:43], v[50:51], 1.0
	v_fmac_f64_e32 v[50:51], v[50:51], v[12:13]
	v_div_scale_f64 v[12:13], vcc, v[8:9], v[30:31], v[8:9]
	v_mul_f64 v[48:49], v[12:13], v[50:51]
	v_fma_f64 v[12:13], -v[42:43], v[48:49], v[12:13]
	s_nop 1
	v_div_fmas_f64 v[12:13], v[12:13], v[50:51], v[48:49]
	v_div_fixup_f64 v[12:13], v[12:13], v[30:31], v[8:9]
.LBB55_34:                              ;   in Loop: Header=BB55_4 Depth=1
	s_cbranch_execnz .LBB55_36
.LBB55_35:                              ;   in Loop: Header=BB55_4 Depth=1
	v_fma_f64 v[10:11], v[6:7], v[34:35], v[8:9]
	v_fma_f64 v[6:7], v[8:9], v[34:35], -v[6:7]
	v_mul_f64 v[10:11], v[10:11], v[40:41]
	v_mul_f64 v[12:13], v[6:7], v[40:41]
.LBB55_36:                              ;   in Loop: Header=BB55_4 Depth=1
	s_and_b64 vcc, exec, s[10:11]
	s_cbranch_vccnz .LBB55_39
; %bb.37:                               ;   in Loop: Header=BB55_4 Depth=1
	s_and_b64 vcc, exec, s[12:13]
	s_cbranch_vccnz .LBB55_40
; %bb.38:                               ;   in Loop: Header=BB55_4 Depth=1
	v_fma_f64 v[6:7], v[4:5], v[36:37], v[2:3]
	v_fma_f64 v[8:9], -v[2:3], v[36:37], v[4:5]
	v_mul_f64 v[6:7], v[6:7], v[38:39]
	v_mul_f64 v[8:9], v[8:9], v[38:39]
	s_cbranch_execz .LBB55_41
	s_branch .LBB55_42
.LBB55_39:                              ;   in Loop: Header=BB55_4 Depth=1
                                        ; implicit-def: $vgpr8_vgpr9
	s_branch .LBB55_43
.LBB55_40:                              ;   in Loop: Header=BB55_4 Depth=1
                                        ; implicit-def: $vgpr8_vgpr9
.LBB55_41:                              ;   in Loop: Header=BB55_4 Depth=1
	v_div_scale_f64 v[6:7], s[10:11], v[32:33], v[32:33], v[2:3]
	v_rcp_f64_e32 v[8:9], v[6:7]
	v_div_scale_f64 v[36:37], vcc, v[2:3], v[32:33], v[2:3]
	v_fma_f64 v[38:39], -v[6:7], v[8:9], 1.0
	v_fmac_f64_e32 v[8:9], v[8:9], v[38:39]
	v_fma_f64 v[38:39], -v[6:7], v[8:9], 1.0
	v_fmac_f64_e32 v[8:9], v[8:9], v[38:39]
	v_mul_f64 v[38:39], v[36:37], v[8:9]
	v_fma_f64 v[6:7], -v[6:7], v[38:39], v[36:37]
	v_div_scale_f64 v[36:37], s[10:11], v[30:31], v[30:31], v[4:5]
	v_rcp_f64_e32 v[42:43], v[36:37]
	v_div_fmas_f64 v[6:7], v[6:7], v[8:9], v[38:39]
	v_div_fixup_f64 v[6:7], v[6:7], v[32:33], v[2:3]
	v_fma_f64 v[8:9], -v[36:37], v[42:43], 1.0
	v_fmac_f64_e32 v[42:43], v[42:43], v[8:9]
	v_fma_f64 v[8:9], -v[36:37], v[42:43], 1.0
	v_fmac_f64_e32 v[42:43], v[42:43], v[8:9]
	v_div_scale_f64 v[8:9], vcc, v[4:5], v[30:31], v[4:5]
	v_mul_f64 v[32:33], v[8:9], v[42:43]
	v_fma_f64 v[8:9], -v[36:37], v[32:33], v[8:9]
	s_nop 1
	v_div_fmas_f64 v[8:9], v[8:9], v[42:43], v[32:33]
	v_div_fixup_f64 v[8:9], v[8:9], v[30:31], v[4:5]
.LBB55_42:                              ;   in Loop: Header=BB55_4 Depth=1
	s_cbranch_execnz .LBB55_44
.LBB55_43:                              ;   in Loop: Header=BB55_4 Depth=1
	v_fma_f64 v[6:7], v[2:3], v[34:35], v[4:5]
	v_fma_f64 v[2:3], v[4:5], v[34:35], -v[2:3]
	v_mul_f64 v[6:7], v[6:7], v[40:41]
	v_mul_f64 v[8:9], v[2:3], v[40:41]
.LBB55_44:                              ;   in Loop: Header=BB55_4 Depth=1
	s_and_saveexec_b64 s[10:11], s[0:1]
	s_xor_b64 s[0:1], exec, s[10:11]
	s_cbranch_execnz .LBB55_48
; %bb.45:                               ;   in Loop: Header=BB55_4 Depth=1
	s_or_b64 exec, exec, s[0:1]
	s_and_saveexec_b64 s[0:1], s[2:3]
	s_cbranch_execnz .LBB55_49
.LBB55_46:                              ;   in Loop: Header=BB55_4 Depth=1
	s_or_b64 exec, exec, s[0:1]
	s_and_saveexec_b64 s[0:1], s[6:7]
	s_cbranch_execnz .LBB55_50
.LBB55_47:                              ;   in Loop: Header=BB55_4 Depth=1
	s_or_b64 exec, exec, s[0:1]
	s_and_saveexec_b64 s[0:1], s[8:9]
	s_cbranch_execz .LBB55_3
	s_branch .LBB55_51
.LBB55_48:                              ;   in Loop: Header=BB55_4 Depth=1
	v_mov_b32_e32 v3, s38
	v_add_co_u32_e32 v2, vcc, s33, v22
	v_addc_co_u32_e32 v3, vcc, 0, v3, vcc
	global_store_dwordx4 v[2:3], v[14:17], off
	s_or_b64 exec, exec, s[0:1]
	s_and_saveexec_b64 s[0:1], s[2:3]
	s_cbranch_execz .LBB55_46
.LBB55_49:                              ;   in Loop: Header=BB55_4 Depth=1
	v_mov_b32_e32 v3, s38
	v_add_co_u32_e32 v2, vcc, s33, v26
	v_addc_co_u32_e32 v3, vcc, 0, v3, vcc
	global_store_dwordx4 v[2:3], v[18:21], off
	s_or_b64 exec, exec, s[0:1]
	s_and_saveexec_b64 s[0:1], s[6:7]
	s_cbranch_execz .LBB55_47
.LBB55_50:                              ;   in Loop: Header=BB55_4 Depth=1
	v_mov_b32_e32 v3, s38
	v_add_co_u32_e32 v2, vcc, s33, v28
	v_addc_co_u32_e32 v3, vcc, v3, v1, vcc
	global_store_dwordx4 v[2:3], v[10:13], off offset:-8
	s_or_b64 exec, exec, s[0:1]
	s_and_saveexec_b64 s[0:1], s[8:9]
	s_cbranch_execz .LBB55_3
.LBB55_51:                              ;   in Loop: Header=BB55_4 Depth=1
	v_mov_b32_e32 v3, s38
	v_add_co_u32_e32 v2, vcc, s33, v24
	v_addc_co_u32_e32 v3, vcc, v3, v25, vcc
	global_store_dwordx4 v[2:3], v[6:9], off offset:-8
	s_branch .LBB55_3
.LBB55_52:
	s_cbranch_execz .LBB55_54
	s_branch .LBB55_89
.LBB55_53:
.LBB55_54:
	v_mov_b32_e32 v21, 0
	v_lshlrev_b32_e32 v20, 2, v0
	s_mov_b32 s14, 0
	v_cmp_gt_i64_e32 vcc, s[24:25], v[20:21]
	s_and_saveexec_b64 s[0:1], vcc
	s_cbranch_execz .LBB55_89
; %bb.55:
	s_load_dword s0, s[4:5], 0xd5c
	v_lshlrev_b32_e32 v1, 6, v0
	s_mov_b32 s17, s14
	s_mov_b64 s[8:9], 0
	s_mov_b64 s[10:11], 0xffff
	s_waitcnt lgkmcnt(0)
	s_and_b32 s0, s0, 0xffff
	s_lshl_b32 s15, s0, 2
	s_add_u32 s1, s26, s28
	s_addc_u32 s2, s27, s29
	v_add_lshl_u32 v20, v0, s0, 2
	v_mov_b32_e32 v0, s2
	v_add_co_u32_e32 v22, vcc, s1, v1
	v_addc_co_u32_e32 v23, vcc, 0, v0, vcc
	s_lshl_b32 s16, s0, 6
	v_pk_mov_b32 v[24:25], v[20:21], v[20:21] op_sel:[0,1]
	s_branch .LBB55_57
.LBB55_56:                              ;   in Loop: Header=BB55_57 Depth=1
	v_cmp_le_i64_e32 vcc, s[24:25], v[24:25]
	v_cmp_lt_u64_e64 s[0:1], s[10:11], v[24:25]
	s_or_b64 s[0:1], vcc, s[0:1]
	v_mov_b32_e32 v0, s14
	v_add_co_u32_e32 v24, vcc, s15, v24
	v_addc_co_u32_e32 v25, vcc, v25, v0, vcc
	global_store_dwordx4 v[22:23], v[8:11], off
	global_store_dwordx4 v[22:23], v[16:19], off offset:16
	global_store_dwordx4 v[22:23], v[12:15], off offset:32
	;; [unrolled: 1-line block ×3, first 2 shown]
	v_mov_b32_e32 v0, s17
	s_and_b64 s[0:1], exec, s[0:1]
	v_add_co_u32_e32 v22, vcc, s16, v22
	s_or_b64 s[8:9], s[0:1], s[8:9]
	v_addc_co_u32_e32 v23, vcc, v23, v0, vcc
	s_andn2_b64 exec, exec, s[8:9]
	s_cbranch_execz .LBB55_89
.LBB55_57:                              ; =>This Inner Loop Header: Depth=1
	global_load_dwordx4 v[8:11], v21, s[18:19]
	global_load_dwordx4 v[0:3], v[22:23], off offset:48
	global_load_dwordx4 v[4:7], v[22:23], off offset:32
	;; [unrolled: 1-line block ×3, first 2 shown]
	global_load_dwordx4 v[16:19], v[22:23], off
	s_waitcnt vmcnt(4)
	v_mul_f64 v[26:27], s[22:23], v[10:11]
	v_mul_f64 v[36:37], s[20:21], v[10:11]
	v_fma_f64 v[10:11], s[20:21], v[8:9], -v[26:27]
	v_fmac_f64_e32 v[36:37], s[22:23], v[8:9]
	v_div_scale_f64 v[8:9], s[2:3], v[10:11], v[10:11], v[36:37]
	v_rcp_f64_e32 v[32:33], v[8:9]
	v_div_scale_f64 v[34:35], s[2:3], v[36:37], v[36:37], v[10:11]
	v_xor_b32_e32 v20, 0x80000000, v11
	v_fma_f64 v[42:43], -v[8:9], v[32:33], 1.0
	v_cmp_gt_f64_e64 s[2:3], 0, v[10:11]
	v_fmac_f64_e32 v[32:33], v[32:33], v[42:43]
	v_xor_b32_e32 v26, 0x80000000, v37
	v_cndmask_b32_e64 v29, v11, v20, s[2:3]
	v_cndmask_b32_e64 v28, v10, v10, s[2:3]
	v_cmp_gt_f64_e64 s[2:3], 0, v[36:37]
	v_fma_f64 v[42:43], -v[8:9], v[32:33], 1.0
	v_cmp_neq_f64_e32 vcc, 0, v[10:11]
	v_cmp_neq_f64_e64 s[0:1], 0, v[36:37]
	v_div_scale_f64 v[30:31], s[4:5], v[36:37], v[10:11], v[36:37]
	v_cndmask_b32_e64 v27, v37, v26, s[2:3]
	v_cndmask_b32_e64 v26, v36, v36, s[2:3]
	v_fmac_f64_e32 v[32:33], v[32:33], v[42:43]
	s_or_b64 s[12:13], vcc, s[0:1]
	v_cmp_nge_f64_e32 vcc, v[28:29], v[26:27]
	v_mul_f64 v[42:43], v[30:31], v[32:33]
	s_and_b64 s[0:1], exec, vcc
	v_fma_f64 v[8:9], -v[8:9], v[42:43], v[30:31]
	s_mov_b64 vcc, s[4:5]
	v_div_fmas_f64 v[8:9], v[8:9], v[32:33], v[42:43]
	v_div_fixup_f64 v[32:33], v[8:9], v[10:11], v[36:37]
	v_rcp_f64_e32 v[40:41], v[34:35]
	v_fma_f64 v[8:9], v[36:37], v[32:33], v[10:11]
	v_div_scale_f64 v[30:31], s[4:5], v[8:9], v[8:9], 1.0
	v_rcp_f64_e32 v[42:43], v[30:31]
	v_fma_f64 v[44:45], -v[34:35], v[40:41], 1.0
	v_fmac_f64_e32 v[40:41], v[40:41], v[44:45]
	v_fma_f64 v[44:45], -v[34:35], v[40:41], 1.0
	v_fma_f64 v[46:47], -v[30:31], v[42:43], 1.0
	v_div_scale_f64 v[38:39], s[6:7], v[10:11], v[36:37], v[10:11]
	v_fmac_f64_e32 v[40:41], v[40:41], v[44:45]
	v_fmac_f64_e32 v[42:43], v[42:43], v[46:47]
	v_mul_f64 v[44:45], v[38:39], v[40:41]
	v_fma_f64 v[46:47], -v[30:31], v[42:43], 1.0
	v_fma_f64 v[34:35], -v[34:35], v[44:45], v[38:39]
	v_div_scale_f64 v[38:39], vcc, 1.0, v[8:9], 1.0
	v_fmac_f64_e32 v[42:43], v[42:43], v[46:47]
	v_mul_f64 v[46:47], v[38:39], v[42:43]
	v_fma_f64 v[30:31], -v[30:31], v[46:47], v[38:39]
	s_nop 0
	v_div_fmas_f64 v[38:39], v[30:31], v[42:43], v[46:47]
	s_mov_b64 vcc, s[6:7]
	v_div_fmas_f64 v[30:31], v[34:35], v[40:41], v[44:45]
	v_div_fixup_f64 v[30:31], v[30:31], v[36:37], v[10:11]
	v_fmac_f64_e32 v[36:37], v[10:11], v[30:31]
	v_div_scale_f64 v[10:11], s[4:5], v[36:37], v[36:37], 1.0
	v_rcp_f64_e32 v[40:41], v[10:11]
	v_div_fixup_f64 v[34:35], v[38:39], v[8:9], 1.0
	v_div_scale_f64 v[8:9], vcc, 1.0, v[36:37], 1.0
	v_fma_f64 v[38:39], -v[10:11], v[40:41], 1.0
	v_fmac_f64_e32 v[40:41], v[40:41], v[38:39]
	v_fma_f64 v[38:39], -v[10:11], v[40:41], 1.0
	v_fmac_f64_e32 v[40:41], v[40:41], v[38:39]
	v_mul_f64 v[38:39], v[8:9], v[40:41]
	v_fma_f64 v[8:9], -v[10:11], v[38:39], v[8:9]
	v_cmp_ge_f64_e64 s[2:3], v[28:29], v[26:27]
	v_div_fmas_f64 v[38:39], v[8:9], v[40:41], v[38:39]
	s_mov_b64 vcc, s[0:1]
	s_cbranch_vccnz .LBB55_60
; %bb.58:                               ;   in Loop: Header=BB55_57 Depth=1
	s_and_b64 vcc, exec, s[12:13]
	s_cbranch_vccz .LBB55_61
; %bb.59:                               ;   in Loop: Header=BB55_57 Depth=1
	s_waitcnt vmcnt(0)
	v_fma_f64 v[8:9], v[18:19], v[32:33], v[16:17]
	v_fma_f64 v[10:11], -v[16:17], v[32:33], v[18:19]
	v_mul_f64 v[8:9], v[8:9], v[34:35]
	v_mul_f64 v[10:11], v[10:11], v[34:35]
	s_cbranch_execz .LBB55_62
	s_branch .LBB55_63
.LBB55_60:                              ;   in Loop: Header=BB55_57 Depth=1
                                        ; implicit-def: $vgpr10_vgpr11
	v_div_fixup_f64 v[36:37], v[38:39], v[36:37], 1.0
	s_branch .LBB55_64
.LBB55_61:                              ;   in Loop: Header=BB55_57 Depth=1
                                        ; implicit-def: $vgpr10_vgpr11
.LBB55_62:                              ;   in Loop: Header=BB55_57 Depth=1
	s_waitcnt vmcnt(0)
	v_div_scale_f64 v[8:9], s[0:1], v[28:29], v[28:29], v[16:17]
	v_rcp_f64_e32 v[10:11], v[8:9]
	v_div_scale_f64 v[40:41], vcc, v[16:17], v[28:29], v[16:17]
	v_fma_f64 v[42:43], -v[8:9], v[10:11], 1.0
	v_fmac_f64_e32 v[10:11], v[10:11], v[42:43]
	v_fma_f64 v[42:43], -v[8:9], v[10:11], 1.0
	v_fmac_f64_e32 v[10:11], v[10:11], v[42:43]
	v_mul_f64 v[42:43], v[40:41], v[10:11]
	v_fma_f64 v[8:9], -v[8:9], v[42:43], v[40:41]
	v_div_scale_f64 v[40:41], s[0:1], v[26:27], v[26:27], v[18:19]
	v_rcp_f64_e32 v[44:45], v[40:41]
	v_div_fmas_f64 v[8:9], v[8:9], v[10:11], v[42:43]
	v_div_fixup_f64 v[8:9], v[8:9], v[28:29], v[16:17]
	v_fma_f64 v[10:11], -v[40:41], v[44:45], 1.0
	v_fmac_f64_e32 v[44:45], v[44:45], v[10:11]
	v_fma_f64 v[10:11], -v[40:41], v[44:45], 1.0
	v_fmac_f64_e32 v[44:45], v[44:45], v[10:11]
	v_div_scale_f64 v[10:11], vcc, v[18:19], v[26:27], v[18:19]
	v_mul_f64 v[42:43], v[10:11], v[44:45]
	v_fma_f64 v[10:11], -v[40:41], v[42:43], v[10:11]
	s_nop 1
	v_div_fmas_f64 v[10:11], v[10:11], v[44:45], v[42:43]
	v_div_fixup_f64 v[10:11], v[10:11], v[26:27], v[18:19]
.LBB55_63:                              ;   in Loop: Header=BB55_57 Depth=1
	v_div_fixup_f64 v[36:37], v[38:39], v[36:37], 1.0
	s_cbranch_execnz .LBB55_65
.LBB55_64:                              ;   in Loop: Header=BB55_57 Depth=1
	s_waitcnt vmcnt(0)
	v_fma_f64 v[8:9], v[16:17], v[30:31], v[18:19]
	v_fma_f64 v[10:11], v[18:19], v[30:31], -v[16:17]
	v_mul_f64 v[8:9], v[8:9], v[36:37]
	v_mul_f64 v[10:11], v[10:11], v[36:37]
.LBB55_65:                              ;   in Loop: Header=BB55_57 Depth=1
	s_waitcnt vmcnt(0)
	v_cndmask_b32_e64 v16, 0, 1, s[2:3]
	v_cmp_ne_u32_e64 s[0:1], 1, v16
	s_andn2_b64 vcc, exec, s[2:3]
	s_cbranch_vccnz .LBB55_68
; %bb.66:                               ;   in Loop: Header=BB55_57 Depth=1
	s_andn2_b64 vcc, exec, s[12:13]
	s_cbranch_vccnz .LBB55_69
; %bb.67:                               ;   in Loop: Header=BB55_57 Depth=1
	v_fma_f64 v[16:17], v[14:15], v[32:33], v[12:13]
	v_fma_f64 v[18:19], -v[12:13], v[32:33], v[14:15]
	v_mul_f64 v[16:17], v[16:17], v[34:35]
	v_mul_f64 v[18:19], v[18:19], v[34:35]
	s_cbranch_execz .LBB55_70
	s_branch .LBB55_71
.LBB55_68:                              ;   in Loop: Header=BB55_57 Depth=1
                                        ; implicit-def: $vgpr18_vgpr19
	s_branch .LBB55_72
.LBB55_69:                              ;   in Loop: Header=BB55_57 Depth=1
                                        ; implicit-def: $vgpr18_vgpr19
.LBB55_70:                              ;   in Loop: Header=BB55_57 Depth=1
	v_div_scale_f64 v[16:17], s[2:3], v[28:29], v[28:29], v[12:13]
	v_rcp_f64_e32 v[18:19], v[16:17]
	v_div_scale_f64 v[38:39], vcc, v[12:13], v[28:29], v[12:13]
	v_fma_f64 v[40:41], -v[16:17], v[18:19], 1.0
	v_fmac_f64_e32 v[18:19], v[18:19], v[40:41]
	v_fma_f64 v[40:41], -v[16:17], v[18:19], 1.0
	v_fmac_f64_e32 v[18:19], v[18:19], v[40:41]
	v_mul_f64 v[40:41], v[38:39], v[18:19]
	v_fma_f64 v[16:17], -v[16:17], v[40:41], v[38:39]
	v_div_scale_f64 v[38:39], s[2:3], v[26:27], v[26:27], v[14:15]
	v_rcp_f64_e32 v[42:43], v[38:39]
	v_div_fmas_f64 v[16:17], v[16:17], v[18:19], v[40:41]
	v_div_fixup_f64 v[16:17], v[16:17], v[28:29], v[12:13]
	v_fma_f64 v[18:19], -v[38:39], v[42:43], 1.0
	v_fmac_f64_e32 v[42:43], v[42:43], v[18:19]
	v_fma_f64 v[18:19], -v[38:39], v[42:43], 1.0
	v_fmac_f64_e32 v[42:43], v[42:43], v[18:19]
	v_div_scale_f64 v[18:19], vcc, v[14:15], v[26:27], v[14:15]
	v_mul_f64 v[40:41], v[18:19], v[42:43]
	v_fma_f64 v[18:19], -v[38:39], v[40:41], v[18:19]
	s_nop 1
	v_div_fmas_f64 v[18:19], v[18:19], v[42:43], v[40:41]
	v_div_fixup_f64 v[18:19], v[18:19], v[26:27], v[14:15]
.LBB55_71:                              ;   in Loop: Header=BB55_57 Depth=1
	s_cbranch_execnz .LBB55_73
.LBB55_72:                              ;   in Loop: Header=BB55_57 Depth=1
	v_fma_f64 v[16:17], v[12:13], v[30:31], v[14:15]
	v_fma_f64 v[12:13], v[14:15], v[30:31], -v[12:13]
	v_mul_f64 v[16:17], v[16:17], v[36:37]
	v_mul_f64 v[18:19], v[12:13], v[36:37]
.LBB55_73:                              ;   in Loop: Header=BB55_57 Depth=1
	s_and_b64 vcc, exec, s[0:1]
	s_cbranch_vccnz .LBB55_76
; %bb.74:                               ;   in Loop: Header=BB55_57 Depth=1
	s_andn2_b64 vcc, exec, s[12:13]
	s_cbranch_vccnz .LBB55_77
; %bb.75:                               ;   in Loop: Header=BB55_57 Depth=1
	v_fma_f64 v[12:13], v[6:7], v[32:33], v[4:5]
	v_fma_f64 v[14:15], -v[4:5], v[32:33], v[6:7]
	v_mul_f64 v[12:13], v[12:13], v[34:35]
	v_mul_f64 v[14:15], v[14:15], v[34:35]
	s_cbranch_execz .LBB55_78
	s_branch .LBB55_79
.LBB55_76:                              ;   in Loop: Header=BB55_57 Depth=1
                                        ; implicit-def: $vgpr14_vgpr15
	s_branch .LBB55_80
.LBB55_77:                              ;   in Loop: Header=BB55_57 Depth=1
                                        ; implicit-def: $vgpr14_vgpr15
.LBB55_78:                              ;   in Loop: Header=BB55_57 Depth=1
	v_div_scale_f64 v[12:13], s[2:3], v[28:29], v[28:29], v[4:5]
	v_rcp_f64_e32 v[14:15], v[12:13]
	v_div_scale_f64 v[38:39], vcc, v[4:5], v[28:29], v[4:5]
	v_fma_f64 v[40:41], -v[12:13], v[14:15], 1.0
	v_fmac_f64_e32 v[14:15], v[14:15], v[40:41]
	v_fma_f64 v[40:41], -v[12:13], v[14:15], 1.0
	v_fmac_f64_e32 v[14:15], v[14:15], v[40:41]
	v_mul_f64 v[40:41], v[38:39], v[14:15]
	v_fma_f64 v[12:13], -v[12:13], v[40:41], v[38:39]
	v_div_scale_f64 v[38:39], s[2:3], v[26:27], v[26:27], v[6:7]
	v_rcp_f64_e32 v[42:43], v[38:39]
	v_div_fmas_f64 v[12:13], v[12:13], v[14:15], v[40:41]
	v_div_fixup_f64 v[12:13], v[12:13], v[28:29], v[4:5]
	v_fma_f64 v[14:15], -v[38:39], v[42:43], 1.0
	v_fmac_f64_e32 v[42:43], v[42:43], v[14:15]
	v_fma_f64 v[14:15], -v[38:39], v[42:43], 1.0
	v_fmac_f64_e32 v[42:43], v[42:43], v[14:15]
	v_div_scale_f64 v[14:15], vcc, v[6:7], v[26:27], v[6:7]
	v_mul_f64 v[40:41], v[14:15], v[42:43]
	v_fma_f64 v[14:15], -v[38:39], v[40:41], v[14:15]
	s_nop 1
	v_div_fmas_f64 v[14:15], v[14:15], v[42:43], v[40:41]
	v_div_fixup_f64 v[14:15], v[14:15], v[26:27], v[6:7]
.LBB55_79:                              ;   in Loop: Header=BB55_57 Depth=1
	s_cbranch_execnz .LBB55_81
.LBB55_80:                              ;   in Loop: Header=BB55_57 Depth=1
	v_fma_f64 v[12:13], v[4:5], v[30:31], v[6:7]
	v_fma_f64 v[4:5], v[6:7], v[30:31], -v[4:5]
	v_mul_f64 v[12:13], v[12:13], v[36:37]
	v_mul_f64 v[14:15], v[4:5], v[36:37]
.LBB55_81:                              ;   in Loop: Header=BB55_57 Depth=1
	s_and_b64 vcc, exec, s[0:1]
	s_cbranch_vccnz .LBB55_84
; %bb.82:                               ;   in Loop: Header=BB55_57 Depth=1
	s_andn2_b64 vcc, exec, s[12:13]
	s_cbranch_vccnz .LBB55_85
; %bb.83:                               ;   in Loop: Header=BB55_57 Depth=1
	v_fma_f64 v[4:5], v[2:3], v[32:33], v[0:1]
	v_fma_f64 v[6:7], -v[0:1], v[32:33], v[2:3]
	v_mul_f64 v[4:5], v[4:5], v[34:35]
	v_mul_f64 v[6:7], v[6:7], v[34:35]
	s_cbranch_execz .LBB55_86
	s_branch .LBB55_87
.LBB55_84:                              ;   in Loop: Header=BB55_57 Depth=1
                                        ; implicit-def: $vgpr6_vgpr7
	s_branch .LBB55_88
.LBB55_85:                              ;   in Loop: Header=BB55_57 Depth=1
                                        ; implicit-def: $vgpr6_vgpr7
.LBB55_86:                              ;   in Loop: Header=BB55_57 Depth=1
	v_div_scale_f64 v[4:5], s[0:1], v[28:29], v[28:29], v[0:1]
	v_rcp_f64_e32 v[6:7], v[4:5]
	v_div_scale_f64 v[32:33], vcc, v[0:1], v[28:29], v[0:1]
	v_fma_f64 v[34:35], -v[4:5], v[6:7], 1.0
	v_fmac_f64_e32 v[6:7], v[6:7], v[34:35]
	v_fma_f64 v[34:35], -v[4:5], v[6:7], 1.0
	v_fmac_f64_e32 v[6:7], v[6:7], v[34:35]
	v_mul_f64 v[34:35], v[32:33], v[6:7]
	v_fma_f64 v[4:5], -v[4:5], v[34:35], v[32:33]
	v_div_scale_f64 v[32:33], s[0:1], v[26:27], v[26:27], v[2:3]
	v_rcp_f64_e32 v[38:39], v[32:33]
	v_div_fmas_f64 v[4:5], v[4:5], v[6:7], v[34:35]
	v_div_fixup_f64 v[4:5], v[4:5], v[28:29], v[0:1]
	v_fma_f64 v[6:7], -v[32:33], v[38:39], 1.0
	v_fmac_f64_e32 v[38:39], v[38:39], v[6:7]
	v_fma_f64 v[6:7], -v[32:33], v[38:39], 1.0
	v_fmac_f64_e32 v[38:39], v[38:39], v[6:7]
	v_div_scale_f64 v[6:7], vcc, v[2:3], v[26:27], v[2:3]
	v_mul_f64 v[28:29], v[6:7], v[38:39]
	v_fma_f64 v[6:7], -v[32:33], v[28:29], v[6:7]
	s_nop 1
	v_div_fmas_f64 v[6:7], v[6:7], v[38:39], v[28:29]
	v_div_fixup_f64 v[6:7], v[6:7], v[26:27], v[2:3]
.LBB55_87:                              ;   in Loop: Header=BB55_57 Depth=1
	s_cbranch_execnz .LBB55_56
.LBB55_88:                              ;   in Loop: Header=BB55_57 Depth=1
	v_fma_f64 v[4:5], v[0:1], v[30:31], v[2:3]
	v_fma_f64 v[0:1], v[2:3], v[30:31], -v[0:1]
	v_mul_f64 v[4:5], v[4:5], v[36:37]
	v_mul_f64 v[6:7], v[0:1], v[36:37]
	s_branch .LBB55_56
.LBB55_89:
	s_endpgm
	.section	.rodata,"a",@progbits
	.p2align	6, 0x0
	.amdhsa_kernel _ZN2at6native12_GLOBAL__N_125multi_tensor_apply_kernelINS1_18TensorListMetadataILi1EEENS1_27BinaryOpScalarTensorFunctorIN3c107complexIdEELi1ELi1ELi0EEEJSt7dividesIS8_EPS8_S8_EEEvT_T0_DpT1_
		.amdhsa_group_segment_fixed_size 0
		.amdhsa_private_segment_fixed_size 0
		.amdhsa_kernarg_size 3664
		.amdhsa_user_sgpr_count 6
		.amdhsa_user_sgpr_private_segment_buffer 1
		.amdhsa_user_sgpr_dispatch_ptr 0
		.amdhsa_user_sgpr_queue_ptr 0
		.amdhsa_user_sgpr_kernarg_segment_ptr 1
		.amdhsa_user_sgpr_dispatch_id 0
		.amdhsa_user_sgpr_flat_scratch_init 0
		.amdhsa_user_sgpr_kernarg_preload_length 0
		.amdhsa_user_sgpr_kernarg_preload_offset 0
		.amdhsa_user_sgpr_private_segment_size 0
		.amdhsa_uses_dynamic_stack 0
		.amdhsa_system_sgpr_private_segment_wavefront_offset 0
		.amdhsa_system_sgpr_workgroup_id_x 1
		.amdhsa_system_sgpr_workgroup_id_y 0
		.amdhsa_system_sgpr_workgroup_id_z 0
		.amdhsa_system_sgpr_workgroup_info 0
		.amdhsa_system_vgpr_workitem_id 0
		.amdhsa_next_free_vgpr 56
		.amdhsa_next_free_sgpr 41
		.amdhsa_accum_offset 56
		.amdhsa_reserve_vcc 1
		.amdhsa_reserve_flat_scratch 0
		.amdhsa_float_round_mode_32 0
		.amdhsa_float_round_mode_16_64 0
		.amdhsa_float_denorm_mode_32 3
		.amdhsa_float_denorm_mode_16_64 3
		.amdhsa_dx10_clamp 1
		.amdhsa_ieee_mode 1
		.amdhsa_fp16_overflow 0
		.amdhsa_tg_split 0
		.amdhsa_exception_fp_ieee_invalid_op 0
		.amdhsa_exception_fp_denorm_src 0
		.amdhsa_exception_fp_ieee_div_zero 0
		.amdhsa_exception_fp_ieee_overflow 0
		.amdhsa_exception_fp_ieee_underflow 0
		.amdhsa_exception_fp_ieee_inexact 0
		.amdhsa_exception_int_div_zero 0
	.end_amdhsa_kernel
	.section	.text._ZN2at6native12_GLOBAL__N_125multi_tensor_apply_kernelINS1_18TensorListMetadataILi1EEENS1_27BinaryOpScalarTensorFunctorIN3c107complexIdEELi1ELi1ELi0EEEJSt7dividesIS8_EPS8_S8_EEEvT_T0_DpT1_,"axG",@progbits,_ZN2at6native12_GLOBAL__N_125multi_tensor_apply_kernelINS1_18TensorListMetadataILi1EEENS1_27BinaryOpScalarTensorFunctorIN3c107complexIdEELi1ELi1ELi0EEEJSt7dividesIS8_EPS8_S8_EEEvT_T0_DpT1_,comdat
.Lfunc_end55:
	.size	_ZN2at6native12_GLOBAL__N_125multi_tensor_apply_kernelINS1_18TensorListMetadataILi1EEENS1_27BinaryOpScalarTensorFunctorIN3c107complexIdEELi1ELi1ELi0EEEJSt7dividesIS8_EPS8_S8_EEEvT_T0_DpT1_, .Lfunc_end55-_ZN2at6native12_GLOBAL__N_125multi_tensor_apply_kernelINS1_18TensorListMetadataILi1EEENS1_27BinaryOpScalarTensorFunctorIN3c107complexIdEELi1ELi1ELi0EEEJSt7dividesIS8_EPS8_S8_EEEvT_T0_DpT1_
                                        ; -- End function
	.section	.AMDGPU.csdata,"",@progbits
; Kernel info:
; codeLenInByte = 4096
; NumSgprs: 45
; NumVgprs: 56
; NumAgprs: 0
; TotalNumVgprs: 56
; ScratchSize: 0
; MemoryBound: 1
; FloatMode: 240
; IeeeMode: 1
; LDSByteSize: 0 bytes/workgroup (compile time only)
; SGPRBlocks: 5
; VGPRBlocks: 6
; NumSGPRsForWavesPerEU: 45
; NumVGPRsForWavesPerEU: 56
; AccumOffset: 56
; Occupancy: 8
; WaveLimiterHint : 0
; COMPUTE_PGM_RSRC2:SCRATCH_EN: 0
; COMPUTE_PGM_RSRC2:USER_SGPR: 6
; COMPUTE_PGM_RSRC2:TRAP_HANDLER: 0
; COMPUTE_PGM_RSRC2:TGID_X_EN: 1
; COMPUTE_PGM_RSRC2:TGID_Y_EN: 0
; COMPUTE_PGM_RSRC2:TGID_Z_EN: 0
; COMPUTE_PGM_RSRC2:TIDIG_COMP_CNT: 0
; COMPUTE_PGM_RSRC3_GFX90A:ACCUM_OFFSET: 13
; COMPUTE_PGM_RSRC3_GFX90A:TG_SPLIT: 0
	.section	.text._ZN2at6native12_GLOBAL__N_125multi_tensor_apply_kernelINS1_18TensorListMetadataILi1EEENS1_27BinaryOpScalarTensorFunctorIN3c107complexIfEELi1ELi1ELi0EEEJSt7dividesIS8_EPS8_S8_EEEvT_T0_DpT1_,"axG",@progbits,_ZN2at6native12_GLOBAL__N_125multi_tensor_apply_kernelINS1_18TensorListMetadataILi1EEENS1_27BinaryOpScalarTensorFunctorIN3c107complexIfEELi1ELi1ELi0EEEJSt7dividesIS8_EPS8_S8_EEEvT_T0_DpT1_,comdat
	.globl	_ZN2at6native12_GLOBAL__N_125multi_tensor_apply_kernelINS1_18TensorListMetadataILi1EEENS1_27BinaryOpScalarTensorFunctorIN3c107complexIfEELi1ELi1ELi0EEEJSt7dividesIS8_EPS8_S8_EEEvT_T0_DpT1_ ; -- Begin function _ZN2at6native12_GLOBAL__N_125multi_tensor_apply_kernelINS1_18TensorListMetadataILi1EEENS1_27BinaryOpScalarTensorFunctorIN3c107complexIfEELi1ELi1ELi0EEEJSt7dividesIS8_EPS8_S8_EEEvT_T0_DpT1_
	.p2align	8
	.type	_ZN2at6native12_GLOBAL__N_125multi_tensor_apply_kernelINS1_18TensorListMetadataILi1EEENS1_27BinaryOpScalarTensorFunctorIN3c107complexIfEELi1ELi1ELi0EEEJSt7dividesIS8_EPS8_S8_EEEvT_T0_DpT1_,@function
_ZN2at6native12_GLOBAL__N_125multi_tensor_apply_kernelINS1_18TensorListMetadataILi1EEENS1_27BinaryOpScalarTensorFunctorIN3c107complexIfEELi1ELi1ELi0EEEJSt7dividesIS8_EPS8_S8_EEEvT_T0_DpT1_: ; @_ZN2at6native12_GLOBAL__N_125multi_tensor_apply_kernelINS1_18TensorListMetadataILi1EEENS1_27BinaryOpScalarTensorFunctorIN3c107complexIfEELi1ELi1ELi0EEEJSt7dividesIS8_EPS8_S8_EEEvT_T0_DpT1_
; %bb.0:
	v_mov_b32_e32 v1, s6
	global_load_ubyte v1, v1, s[4:5] offset:1760
	s_add_u32 s0, s4, s6
	s_mul_hi_u32 s1, s6, 3
	s_mul_i32 s6, s6, 3
	s_addc_u32 s2, s5, 0
	s_add_u32 s0, s0, s6
	s_addc_u32 s1, s2, s1
	s_load_dword s0, s[0:1], 0x820
	s_mov_b32 s7, 0
	s_load_dwordx4 s[20:23], s[4:5], 0xd30
	s_waitcnt vmcnt(0)
	v_readfirstlane_b32 s1, v1
	s_lshl_b32 s1, s1, 3
	s_load_dwordx2 s[2:3], s[4:5], s1 offset:0x370
	s_load_dwordx2 s[24:25], s[4:5], s1 offset:0x0
	s_waitcnt lgkmcnt(0)
	s_ashr_i32 s1, s0, 31
	s_lshl_b64 s[26:27], s[0:1], 19
	s_lshl_b64 s[0:1], s[0:1], 16
	s_and_b32 s6, s24, 31
	s_sub_u32 s18, s2, s0
	s_subb_u32 s19, s3, s1
	s_and_b32 s0, s2, 3
	s_mov_b32 s1, s7
	s_or_b64 s[0:1], s[6:7], s[0:1]
	s_cmp_eq_u64 s[0:1], 0
	s_cbranch_scc1 .LBB56_53
; %bb.1:
	v_cmp_lt_i64_e64 s[0:1], s[18:19], 1
	s_and_b64 vcc, exec, s[0:1]
	s_cbranch_vccnz .LBB56_52
; %bb.2:
	s_load_dword s0, s[4:5], 0xd4c
	v_mov_b32_e32 v2, 0x10000
	v_mov_b32_e32 v3, 0
	v_cmp_lt_u64_e32 vcc, s[18:19], v[2:3]
	v_lshlrev_b32_e32 v2, 3, v0
	s_waitcnt lgkmcnt(0)
	s_and_b32 s2, s0, 0xffff
	s_and_b64 s[0:1], vcc, exec
	s_cselect_b32 s29, s19, 0
	s_cselect_b32 s28, s18, 0x10000
	s_lshl_b32 s3, s2, 1
	s_lshl_b32 s40, s2, 2
	s_add_u32 s6, s24, s26
	s_addc_u32 s7, s25, s27
	v_mov_b32_e32 v3, s7
	v_add_co_u32_e32 v2, vcc, s6, v2
	s_mul_i32 s0, s2, 3
	v_addc_co_u32_e32 v3, vcc, 0, v3, vcc
	v_add_co_u32_e32 v17, vcc, s0, v0
	v_addc_co_u32_e64 v19, s[0:1], 0, 0, vcc
	v_add_co_u32_e32 v21, vcc, s3, v0
	v_addc_co_u32_e64 v24, s[0:1], 0, 0, vcc
	v_add_co_u32_e32 v25, vcc, s2, v0
	v_lshlrev_b32_e32 v4, 3, v25
	s_mov_b32 s33, 0
	v_addc_co_u32_e64 v26, s[0:1], 0, 0, vcc
	v_mov_b32_e32 v5, s7
	v_add_co_u32_e32 v4, vcc, s6, v4
	v_mov_b32_e32 v1, 0
	s_mov_b32 s30, s22
	s_mov_b32 s31, s22
	;; [unrolled: 1-line block ×4, first 2 shown]
	s_lshl_b32 s41, s2, 5
	s_mul_i32 s42, s2, 24
	s_mov_b32 s43, s33
	s_lshl_b32 s44, s2, 4
	s_mov_b32 s45, s33
	v_addc_co_u32_e32 v5, vcc, 0, v5, vcc
	s_mov_b64 s[36:37], 0
	s_branch .LBB56_4
.LBB56_3:                               ;   in Loop: Header=BB56_4 Depth=1
	s_or_b64 exec, exec, s[0:1]
	s_add_u32 s36, s36, s40
	s_addc_u32 s37, s37, 0
	v_pk_mov_b32 v[6:7], s[18:19], s[18:19] op_sel:[0,1]
	v_cmp_ge_i64_e32 vcc, s[36:37], v[6:7]
	v_mov_b32_e32 v6, 0xffff
	v_mov_b32_e32 v7, 0
	v_cmp_gt_u64_e64 s[0:1], s[36:37], v[6:7]
	s_or_b64 s[0:1], vcc, s[0:1]
	v_mov_b32_e32 v6, s33
	v_add_co_u32_e32 v2, vcc, s41, v2
	v_addc_co_u32_e32 v3, vcc, v3, v6, vcc
	v_add_co_u32_e32 v4, vcc, s41, v4
	v_addc_co_u32_e32 v5, vcc, v5, v6, vcc
	s_and_b64 vcc, exec, s[0:1]
	s_cbranch_vccnz .LBB56_52
.LBB56_4:                               ; =>This Inner Loop Header: Depth=1
	v_mov_b32_e32 v7, s37
	v_add_co_u32_e32 v6, vcc, s36, v0
	v_addc_co_u32_e32 v7, vcc, 0, v7, vcc
	v_cmp_gt_u64_e64 s[0:1], s[28:29], v[6:7]
	v_mov_b32_e32 v22, 0
	v_mov_b32_e32 v23, 0
	s_and_saveexec_b64 s[2:3], s[0:1]
	s_cbranch_execz .LBB56_6
; %bb.5:                                ;   in Loop: Header=BB56_4 Depth=1
	global_load_dwordx2 v[22:23], v[2:3], off
.LBB56_6:                               ;   in Loop: Header=BB56_4 Depth=1
	s_or_b64 exec, exec, s[2:3]
	v_mov_b32_e32 v7, s37
	v_add_co_u32_e32 v6, vcc, s36, v25
	v_addc_co_u32_e32 v7, vcc, v26, v7, vcc
	v_cmp_gt_u64_e64 s[2:3], s[28:29], v[6:7]
	v_mov_b32_e32 v8, 0
	v_mov_b32_e32 v12, 0
	v_mov_b32_e32 v13, 0
	s_and_saveexec_b64 s[6:7], s[2:3]
	s_cbranch_execz .LBB56_8
; %bb.7:                                ;   in Loop: Header=BB56_4 Depth=1
	global_load_dwordx2 v[12:13], v[4:5], off
.LBB56_8:                               ;   in Loop: Header=BB56_4 Depth=1
	s_or_b64 exec, exec, s[6:7]
	v_mov_b32_e32 v7, s37
	v_add_co_u32_e32 v6, vcc, s36, v21
	v_addc_co_u32_e32 v7, vcc, v24, v7, vcc
	v_cmp_gt_u64_e64 s[6:7], s[28:29], v[6:7]
	v_mov_b32_e32 v9, 0
	s_and_saveexec_b64 s[8:9], s[6:7]
	s_cbranch_execz .LBB56_10
; %bb.9:                                ;   in Loop: Header=BB56_4 Depth=1
	v_mov_b32_e32 v7, s45
	v_add_co_u32_e32 v6, vcc, s44, v2
	v_addc_co_u32_e32 v7, vcc, v3, v7, vcc
	global_load_dwordx2 v[8:9], v[6:7], off
.LBB56_10:                              ;   in Loop: Header=BB56_4 Depth=1
	s_or_b64 exec, exec, s[8:9]
	v_mov_b32_e32 v7, s37
	v_add_co_u32_e32 v6, vcc, s36, v17
	v_addc_co_u32_e32 v7, vcc, v19, v7, vcc
	v_cmp_gt_u64_e64 s[8:9], s[28:29], v[6:7]
	v_mov_b32_e32 v6, 0
	v_mov_b32_e32 v7, v6
	s_and_saveexec_b64 s[10:11], s[8:9]
	s_cbranch_execz .LBB56_12
; %bb.11:                               ;   in Loop: Header=BB56_4 Depth=1
	v_mov_b32_e32 v7, s43
	v_add_co_u32_e32 v6, vcc, s42, v2
	v_addc_co_u32_e32 v7, vcc, v3, v7, vcc
	global_load_dwordx2 v[6:7], v[6:7], off
.LBB56_12:                              ;   in Loop: Header=BB56_4 Depth=1
	s_or_b64 exec, exec, s[10:11]
	global_load_dwordx2 v[10:11], v1, s[20:21]
	s_waitcnt vmcnt(0)
	v_pk_mul_f32 v[14:15], v[10:11], s[34:35]
	v_pk_fma_f32 v[30:31], v[10:11], s[30:31], v[14:15] op_sel:[0,0,1] op_sel_hi:[1,1,0] neg_lo:[0,0,1] neg_hi:[0,0,1]
	v_pk_fma_f32 v[10:11], v[10:11], s[30:31], v[14:15] op_sel:[0,0,1] op_sel_hi:[1,1,0]
	v_div_scale_f32 v10, s[12:13], v30, v30, v11
	v_rcp_f32_e32 v16, v10
	v_div_scale_f32 v14, s[14:15], v11, v30, v11
	v_cmp_gt_f32_e32 vcc, 0, v11
	v_fma_f32 v29, -v10, v16, 1.0
	v_fmac_f32_e32 v16, v29, v16
	v_mul_f32_e32 v29, v14, v16
	v_cndmask_b32_e64 v28, v11, -v11, vcc
	v_cmp_gt_f32_e32 vcc, 0, v30
	v_fma_f32 v32, -v10, v29, v14
	v_cndmask_b32_e64 v27, v30, -v30, vcc
	v_cmp_neq_f32_e32 vcc, 0, v30
	v_cmp_neq_f32_e64 s[10:11], 0, v11
	v_fmac_f32_e32 v29, v32, v16
	v_div_scale_f32 v15, s[12:13], v11, v11, v30
	s_or_b64 s[38:39], vcc, s[10:11]
	v_fma_f32 v10, -v10, v29, v14
	s_mov_b64 vcc, s[14:15]
	v_rcp_f32_e32 v20, v15
	v_div_fmas_f32 v10, v10, v16, v29
	v_div_fixup_f32 v16, v10, v30, v11
	v_fma_f32 v14, v11, v16, v30
	v_div_scale_f32 v10, s[14:15], v14, v14, 1.0
	v_fma_f32 v31, -v15, v20, 1.0
	v_rcp_f32_e32 v29, v10
	v_div_scale_f32 v18, s[16:17], v30, v11, v30
	v_fmac_f32_e32 v20, v31, v20
	v_mul_f32_e32 v31, v18, v20
	v_fma_f32 v33, -v15, v31, v18
	v_fmac_f32_e32 v31, v33, v20
	v_fma_f32 v32, -v10, v29, 1.0
	v_fma_f32 v15, -v15, v31, v18
	v_div_scale_f32 v18, vcc, 1.0, v14, 1.0
	v_fmac_f32_e32 v29, v32, v29
	v_mul_f32_e32 v32, v18, v29
	v_fma_f32 v33, -v10, v32, v18
	v_fmac_f32_e32 v32, v33, v29
	v_fma_f32 v10, -v10, v32, v18
	v_div_fmas_f32 v18, v10, v29, v32
	s_mov_b64 vcc, s[16:17]
	v_div_fmas_f32 v10, v15, v20, v31
	v_div_fixup_f32 v10, v10, v11, v30
	v_fmac_f32_e32 v11, v30, v10
	v_div_scale_f32 v15, s[14:15], v11, v11, 1.0
	v_rcp_f32_e32 v20, v15
	v_div_fixup_f32 v18, v18, v14, 1.0
	v_div_scale_f32 v14, vcc, 1.0, v11, 1.0
	v_fma_f32 v29, -v15, v20, 1.0
	v_fmac_f32_e32 v20, v29, v20
	v_mul_f32_e32 v29, v14, v20
	v_fma_f32 v30, -v15, v29, v14
	v_cmp_ge_f32_e64 s[12:13], v27, v28
	v_fmac_f32_e32 v29, v30, v20
	s_and_b64 s[10:11], exec, s[12:13]
	v_fma_f32 v14, -v15, v29, v14
	v_div_fmas_f32 v20, v14, v20, v29
	s_mov_b64 vcc, s[10:11]
	s_cbranch_vccz .LBB56_15
; %bb.13:                               ;   in Loop: Header=BB56_4 Depth=1
	s_and_b64 vcc, exec, s[38:39]
	s_cbranch_vccz .LBB56_16
; %bb.14:                               ;   in Loop: Header=BB56_4 Depth=1
	v_pk_mul_f32 v[14:15], v[22:23], v[16:17] op_sel_hi:[1,0]
	v_pk_add_f32 v[30:31], v[22:23], v[14:15] op_sel:[0,1] op_sel_hi:[1,0]
	v_pk_add_f32 v[14:15], v[22:23], v[14:15] op_sel:[0,1] op_sel_hi:[1,0] neg_lo:[0,1] neg_hi:[0,1]
	v_mov_b32_e32 v31, v15
	v_pk_mul_f32 v[14:15], v[30:31], v[18:19] op_sel_hi:[1,0]
	s_cbranch_execz .LBB56_17
	s_branch .LBB56_18
.LBB56_15:                              ;   in Loop: Header=BB56_4 Depth=1
                                        ; implicit-def: $vgpr14_vgpr15
	v_div_fixup_f32 v20, v20, v11, 1.0
	s_branch .LBB56_19
.LBB56_16:                              ;   in Loop: Header=BB56_4 Depth=1
                                        ; implicit-def: $vgpr14_vgpr15
.LBB56_17:                              ;   in Loop: Header=BB56_4 Depth=1
	v_div_scale_f32 v14, s[10:11], v28, v28, v23
	v_rcp_f32_e32 v15, v14
	v_div_scale_f32 v29, vcc, v23, v28, v23
	v_fma_f32 v30, -v14, v15, 1.0
	v_fmac_f32_e32 v15, v30, v15
	v_mul_f32_e32 v30, v29, v15
	v_fma_f32 v31, -v14, v30, v29
	v_fmac_f32_e32 v30, v31, v15
	v_fma_f32 v14, -v14, v30, v29
	v_div_scale_f32 v29, s[10:11], v27, v27, v22
	v_rcp_f32_e32 v31, v29
	v_div_fmas_f32 v14, v14, v15, v30
	v_div_fixup_f32 v15, v14, v28, v23
	v_fma_f32 v14, -v29, v31, 1.0
	v_fmac_f32_e32 v31, v14, v31
	v_div_scale_f32 v14, vcc, v22, v27, v22
	v_mul_f32_e32 v30, v14, v31
	v_fma_f32 v32, -v29, v30, v14
	v_fmac_f32_e32 v30, v32, v31
	v_fma_f32 v14, -v29, v30, v14
	v_div_fmas_f32 v14, v14, v31, v30
	v_div_fixup_f32 v14, v14, v27, v22
.LBB56_18:                              ;   in Loop: Header=BB56_4 Depth=1
	v_div_fixup_f32 v20, v20, v11, 1.0
	s_cbranch_execnz .LBB56_20
.LBB56_19:                              ;   in Loop: Header=BB56_4 Depth=1
	v_pk_fma_f32 v[14:15], v[22:23], v[10:11], v[22:23] op_sel:[0,0,1] op_sel_hi:[1,1,0]
	v_pk_fma_f32 v[22:23], v[22:23], v[10:11], v[22:23] op_sel:[0,0,1] op_sel_hi:[1,0,0] neg_lo:[0,0,1] neg_hi:[0,0,1]
	v_mov_b32_e32 v15, v23
	v_pk_mul_f32 v[14:15], v[14:15], v[20:21] op_sel_hi:[1,0]
.LBB56_20:                              ;   in Loop: Header=BB56_4 Depth=1
	v_cndmask_b32_e64 v11, 0, 1, s[12:13]
	v_cmp_ne_u32_e64 s[10:11], 1, v11
	v_cndmask_b32_e64 v11, 0, 1, s[38:39]
	s_andn2_b64 vcc, exec, s[12:13]
	v_cmp_ne_u32_e64 s[12:13], 1, v11
	s_cbranch_vccnz .LBB56_23
; %bb.21:                               ;   in Loop: Header=BB56_4 Depth=1
	s_and_b64 vcc, exec, s[12:13]
	s_cbranch_vccnz .LBB56_24
; %bb.22:                               ;   in Loop: Header=BB56_4 Depth=1
	v_pk_mul_f32 v[22:23], v[12:13], v[16:17] op_sel_hi:[1,0]
	v_pk_add_f32 v[30:31], v[12:13], v[22:23] op_sel:[0,1] op_sel_hi:[1,0]
	v_pk_add_f32 v[22:23], v[12:13], v[22:23] op_sel:[0,1] op_sel_hi:[1,0] neg_lo:[0,1] neg_hi:[0,1]
	v_mov_b32_e32 v31, v23
	v_pk_mul_f32 v[22:23], v[30:31], v[18:19] op_sel_hi:[1,0]
	s_cbranch_execz .LBB56_25
	s_branch .LBB56_26
.LBB56_23:                              ;   in Loop: Header=BB56_4 Depth=1
                                        ; implicit-def: $vgpr22_vgpr23
	s_branch .LBB56_27
.LBB56_24:                              ;   in Loop: Header=BB56_4 Depth=1
                                        ; implicit-def: $vgpr22_vgpr23
.LBB56_25:                              ;   in Loop: Header=BB56_4 Depth=1
	v_div_scale_f32 v11, s[14:15], v28, v28, v13
	v_rcp_f32_e32 v22, v11
	v_div_scale_f32 v23, vcc, v13, v28, v13
	v_fma_f32 v29, -v11, v22, 1.0
	v_fmac_f32_e32 v22, v29, v22
	v_mul_f32_e32 v29, v23, v22
	v_fma_f32 v30, -v11, v29, v23
	v_fmac_f32_e32 v29, v30, v22
	v_div_scale_f32 v30, s[14:15], v27, v27, v12
	v_rcp_f32_e32 v31, v30
	v_fma_f32 v11, -v11, v29, v23
	v_div_fmas_f32 v11, v11, v22, v29
	v_div_fixup_f32 v23, v11, v28, v13
	v_fma_f32 v11, -v30, v31, 1.0
	v_fmac_f32_e32 v31, v11, v31
	v_div_scale_f32 v11, vcc, v12, v27, v12
	v_mul_f32_e32 v22, v11, v31
	v_fma_f32 v29, -v30, v22, v11
	v_fmac_f32_e32 v22, v29, v31
	v_fma_f32 v11, -v30, v22, v11
	v_div_fmas_f32 v11, v11, v31, v22
	v_div_fixup_f32 v22, v11, v27, v12
.LBB56_26:                              ;   in Loop: Header=BB56_4 Depth=1
	s_cbranch_execnz .LBB56_28
.LBB56_27:                              ;   in Loop: Header=BB56_4 Depth=1
	v_pk_fma_f32 v[22:23], v[12:13], v[10:11], v[12:13] op_sel:[0,0,1] op_sel_hi:[1,1,0]
	v_pk_fma_f32 v[12:13], v[12:13], v[10:11], v[12:13] op_sel:[0,0,1] op_sel_hi:[1,0,0] neg_lo:[0,0,1] neg_hi:[0,0,1]
	v_mov_b32_e32 v23, v13
	v_pk_mul_f32 v[22:23], v[22:23], v[20:21] op_sel_hi:[1,0]
.LBB56_28:                              ;   in Loop: Header=BB56_4 Depth=1
	s_and_b64 vcc, exec, s[10:11]
	s_cbranch_vccnz .LBB56_31
; %bb.29:                               ;   in Loop: Header=BB56_4 Depth=1
	s_and_b64 vcc, exec, s[12:13]
	s_cbranch_vccnz .LBB56_32
; %bb.30:                               ;   in Loop: Header=BB56_4 Depth=1
	v_pk_mul_f32 v[12:13], v[8:9], v[16:17] op_sel_hi:[1,0]
	v_pk_add_f32 v[30:31], v[8:9], v[12:13] op_sel:[0,1] op_sel_hi:[1,0]
	v_pk_add_f32 v[12:13], v[8:9], v[12:13] op_sel:[0,1] op_sel_hi:[1,0] neg_lo:[0,1] neg_hi:[0,1]
	v_mov_b32_e32 v31, v13
	v_pk_mul_f32 v[12:13], v[30:31], v[18:19] op_sel_hi:[1,0]
	s_cbranch_execz .LBB56_33
	s_branch .LBB56_34
.LBB56_31:                              ;   in Loop: Header=BB56_4 Depth=1
                                        ; implicit-def: $vgpr12_vgpr13
	s_branch .LBB56_35
.LBB56_32:                              ;   in Loop: Header=BB56_4 Depth=1
                                        ; implicit-def: $vgpr12_vgpr13
.LBB56_33:                              ;   in Loop: Header=BB56_4 Depth=1
	v_div_scale_f32 v11, s[14:15], v28, v28, v9
	v_rcp_f32_e32 v12, v11
	v_div_scale_f32 v13, vcc, v9, v28, v9
	v_fma_f32 v29, -v11, v12, 1.0
	v_fmac_f32_e32 v12, v29, v12
	v_mul_f32_e32 v29, v13, v12
	v_fma_f32 v30, -v11, v29, v13
	v_fmac_f32_e32 v29, v30, v12
	v_div_scale_f32 v30, s[14:15], v27, v27, v8
	v_rcp_f32_e32 v31, v30
	v_fma_f32 v11, -v11, v29, v13
	v_div_fmas_f32 v11, v11, v12, v29
	v_div_fixup_f32 v13, v11, v28, v9
	v_fma_f32 v11, -v30, v31, 1.0
	v_fmac_f32_e32 v31, v11, v31
	v_div_scale_f32 v11, vcc, v8, v27, v8
	v_mul_f32_e32 v12, v11, v31
	v_fma_f32 v29, -v30, v12, v11
	v_fmac_f32_e32 v12, v29, v31
	v_fma_f32 v11, -v30, v12, v11
	v_div_fmas_f32 v11, v11, v31, v12
	v_div_fixup_f32 v12, v11, v27, v8
.LBB56_34:                              ;   in Loop: Header=BB56_4 Depth=1
	s_cbranch_execnz .LBB56_36
.LBB56_35:                              ;   in Loop: Header=BB56_4 Depth=1
	v_pk_fma_f32 v[12:13], v[8:9], v[10:11], v[8:9] op_sel:[0,0,1] op_sel_hi:[1,1,0]
	v_pk_fma_f32 v[8:9], v[8:9], v[10:11], v[8:9] op_sel:[0,0,1] op_sel_hi:[1,0,0] neg_lo:[0,0,1] neg_hi:[0,0,1]
	v_mov_b32_e32 v13, v9
	v_pk_mul_f32 v[12:13], v[12:13], v[20:21] op_sel_hi:[1,0]
.LBB56_36:                              ;   in Loop: Header=BB56_4 Depth=1
	s_and_b64 vcc, exec, s[10:11]
	s_cbranch_vccnz .LBB56_39
; %bb.37:                               ;   in Loop: Header=BB56_4 Depth=1
	s_and_b64 vcc, exec, s[12:13]
	s_cbranch_vccnz .LBB56_40
; %bb.38:                               ;   in Loop: Header=BB56_4 Depth=1
	v_pk_mul_f32 v[8:9], v[6:7], v[16:17] op_sel_hi:[1,0]
	v_pk_add_f32 v[30:31], v[6:7], v[8:9] op_sel:[0,1] op_sel_hi:[1,0]
	v_pk_add_f32 v[8:9], v[6:7], v[8:9] op_sel:[0,1] op_sel_hi:[1,0] neg_lo:[0,1] neg_hi:[0,1]
	v_mov_b32_e32 v31, v9
	v_pk_mul_f32 v[8:9], v[30:31], v[18:19] op_sel_hi:[1,0]
	s_cbranch_execz .LBB56_41
	s_branch .LBB56_42
.LBB56_39:                              ;   in Loop: Header=BB56_4 Depth=1
                                        ; implicit-def: $vgpr8_vgpr9
	s_branch .LBB56_43
.LBB56_40:                              ;   in Loop: Header=BB56_4 Depth=1
                                        ; implicit-def: $vgpr8_vgpr9
.LBB56_41:                              ;   in Loop: Header=BB56_4 Depth=1
	v_div_scale_f32 v8, s[10:11], v28, v28, v7
	v_rcp_f32_e32 v9, v8
	v_div_scale_f32 v11, vcc, v7, v28, v7
	v_fma_f32 v16, -v8, v9, 1.0
	v_fmac_f32_e32 v9, v16, v9
	v_mul_f32_e32 v16, v11, v9
	v_fma_f32 v18, -v8, v16, v11
	v_fmac_f32_e32 v16, v18, v9
	v_fma_f32 v8, -v8, v16, v11
	v_div_scale_f32 v11, s[10:11], v27, v27, v6
	v_rcp_f32_e32 v18, v11
	v_div_fmas_f32 v8, v8, v9, v16
	v_div_fixup_f32 v9, v8, v28, v7
	v_fma_f32 v8, -v11, v18, 1.0
	v_fmac_f32_e32 v18, v8, v18
	v_div_scale_f32 v8, vcc, v6, v27, v6
	v_mul_f32_e32 v16, v8, v18
	v_fma_f32 v28, -v11, v16, v8
	v_fmac_f32_e32 v16, v28, v18
	v_fma_f32 v8, -v11, v16, v8
	v_div_fmas_f32 v8, v8, v18, v16
	v_div_fixup_f32 v8, v8, v27, v6
.LBB56_42:                              ;   in Loop: Header=BB56_4 Depth=1
	s_cbranch_execnz .LBB56_44
.LBB56_43:                              ;   in Loop: Header=BB56_4 Depth=1
	v_pk_fma_f32 v[8:9], v[6:7], v[10:11], v[6:7] op_sel:[0,0,1] op_sel_hi:[1,1,0]
	v_pk_fma_f32 v[6:7], v[6:7], v[10:11], v[6:7] op_sel:[0,0,1] op_sel_hi:[1,0,0] neg_lo:[0,0,1] neg_hi:[0,0,1]
	v_mov_b32_e32 v9, v7
	v_pk_mul_f32 v[8:9], v[8:9], v[20:21] op_sel_hi:[1,0]
.LBB56_44:                              ;   in Loop: Header=BB56_4 Depth=1
	s_and_saveexec_b64 s[10:11], s[0:1]
	s_xor_b64 s[0:1], exec, s[10:11]
	s_cbranch_execnz .LBB56_48
; %bb.45:                               ;   in Loop: Header=BB56_4 Depth=1
	s_or_b64 exec, exec, s[0:1]
	s_and_saveexec_b64 s[0:1], s[2:3]
	s_cbranch_execnz .LBB56_49
.LBB56_46:                              ;   in Loop: Header=BB56_4 Depth=1
	s_or_b64 exec, exec, s[0:1]
	s_and_saveexec_b64 s[0:1], s[6:7]
	s_cbranch_execnz .LBB56_50
.LBB56_47:                              ;   in Loop: Header=BB56_4 Depth=1
	s_or_b64 exec, exec, s[0:1]
	s_and_saveexec_b64 s[0:1], s[8:9]
	s_cbranch_execz .LBB56_3
	s_branch .LBB56_51
.LBB56_48:                              ;   in Loop: Header=BB56_4 Depth=1
	global_store_dwordx2 v[2:3], v[14:15], off
	s_or_b64 exec, exec, s[0:1]
	s_and_saveexec_b64 s[0:1], s[2:3]
	s_cbranch_execz .LBB56_46
.LBB56_49:                              ;   in Loop: Header=BB56_4 Depth=1
	global_store_dwordx2 v[4:5], v[22:23], off
	s_or_b64 exec, exec, s[0:1]
	s_and_saveexec_b64 s[0:1], s[6:7]
	s_cbranch_execz .LBB56_47
.LBB56_50:                              ;   in Loop: Header=BB56_4 Depth=1
	v_mov_b32_e32 v7, s45
	v_add_co_u32_e32 v6, vcc, s44, v2
	v_addc_co_u32_e32 v7, vcc, v3, v7, vcc
	global_store_dwordx2 v[6:7], v[12:13], off
	s_or_b64 exec, exec, s[0:1]
	s_and_saveexec_b64 s[0:1], s[8:9]
	s_cbranch_execz .LBB56_3
.LBB56_51:                              ;   in Loop: Header=BB56_4 Depth=1
	v_mov_b32_e32 v7, s43
	v_add_co_u32_e32 v6, vcc, s42, v2
	v_addc_co_u32_e32 v7, vcc, v3, v7, vcc
	global_store_dwordx2 v[6:7], v[8:9], off
	s_branch .LBB56_3
.LBB56_52:
	s_cbranch_execz .LBB56_54
	s_branch .LBB56_89
.LBB56_53:
.LBB56_54:
	v_mov_b32_e32 v13, 0
	v_lshlrev_b32_e32 v12, 2, v0
	s_mov_b32 s28, 0
	v_cmp_gt_i64_e32 vcc, s[18:19], v[12:13]
	s_and_saveexec_b64 s[0:1], vcc
	s_cbranch_execz .LBB56_89
; %bb.55:
	s_load_dword s0, s[4:5], 0xd4c
	s_mov_b32 s10, s22
	s_mov_b32 s11, s22
	;; [unrolled: 1-line block ×3, first 2 shown]
	s_mov_b64 s[12:13], 0
	s_waitcnt lgkmcnt(0)
	s_and_b32 s0, s0, 0xffff
	s_lshl_b32 s29, s0, 2
	s_add_u32 s1, s24, s26
	v_add_lshl_u32 v12, v0, s0, 2
	v_lshlrev_b32_e32 v0, 5, v0
	s_addc_u32 s2, s25, s27
	v_mov_b32_e32 v1, s2
	v_add_co_u32_e32 v0, vcc, s1, v0
	v_addc_co_u32_e32 v1, vcc, 0, v1, vcc
	v_add_co_u32_e32 v14, vcc, 16, v0
	v_addc_co_u32_e32 v15, vcc, 0, v1, vcc
	s_lshl_b32 s24, s0, 5
	s_mov_b32 s25, s28
	s_mov_b64 s[14:15], 0xffff
	v_pk_mov_b32 v[16:17], v[12:13], v[12:13] op_sel:[0,1]
	s_branch .LBB56_57
.LBB56_56:                              ;   in Loop: Header=BB56_57 Depth=1
	v_cmp_le_i64_e32 vcc, s[18:19], v[16:17]
	v_cmp_lt_u64_e64 s[0:1], s[14:15], v[16:17]
	s_or_b64 s[0:1], vcc, s[0:1]
	v_mov_b32_e32 v0, s28
	v_add_co_u32_e32 v16, vcc, s29, v16
	v_addc_co_u32_e32 v17, vcc, v17, v0, vcc
	global_store_dwordx4 v[14:15], v[4:7], off offset:-16
	global_store_dwordx4 v[14:15], v[8:11], off
	v_mov_b32_e32 v0, s25
	s_and_b64 s[0:1], exec, s[0:1]
	v_add_co_u32_e32 v14, vcc, s24, v14
	s_or_b64 s[12:13], s[0:1], s[12:13]
	v_addc_co_u32_e32 v15, vcc, v15, v0, vcc
	s_andn2_b64 exec, exec, s[12:13]
	s_cbranch_execz .LBB56_89
.LBB56_57:                              ; =>This Inner Loop Header: Depth=1
	global_load_dwordx2 v[4:5], v13, s[20:21]
	global_load_dwordx4 v[0:3], v[14:15], off
	global_load_dwordx4 v[6:9], v[14:15], off offset:-16
	s_waitcnt vmcnt(2)
	v_pk_mul_f32 v[10:11], v[4:5], s[22:23]
	v_pk_fma_f32 v[18:19], v[4:5], s[10:11], v[10:11] op_sel:[0,0,1] op_sel_hi:[1,1,0] neg_lo:[0,0,1] neg_hi:[0,0,1]
	v_pk_fma_f32 v[10:11], v[4:5], s[10:11], v[10:11] op_sel:[0,0,1] op_sel_hi:[1,1,0]
	v_div_scale_f32 v4, s[2:3], v18, v18, v11
	v_rcp_f32_e32 v10, v4
	v_div_scale_f32 v5, s[4:5], v11, v18, v11
	v_cmp_gt_f32_e32 vcc, 0, v11
	v_fma_f32 v23, -v4, v10, 1.0
	v_fmac_f32_e32 v10, v23, v10
	v_mul_f32_e32 v23, v5, v10
	v_cndmask_b32_e64 v21, v11, -v11, vcc
	v_cmp_gt_f32_e32 vcc, 0, v18
	v_fma_f32 v25, -v4, v23, v5
	v_cndmask_b32_e64 v19, v18, -v18, vcc
	v_cmp_neq_f32_e32 vcc, 0, v18
	v_cmp_neq_f32_e64 s[0:1], 0, v11
	v_fmac_f32_e32 v23, v25, v10
	v_div_scale_f32 v12, s[2:3], v11, v11, v18
	s_or_b64 s[16:17], vcc, s[0:1]
	v_fma_f32 v4, -v4, v23, v5
	s_mov_b64 vcc, s[4:5]
	v_rcp_f32_e32 v22, v12
	v_div_fmas_f32 v4, v4, v10, v23
	v_div_fixup_f32 v10, v4, v18, v11
	v_fma_f32 v4, v11, v10, v18
	v_div_scale_f32 v5, s[4:5], v4, v4, 1.0
	v_fma_f32 v24, -v12, v22, 1.0
	v_rcp_f32_e32 v23, v5
	v_div_scale_f32 v20, s[6:7], v18, v11, v18
	v_fmac_f32_e32 v22, v24, v22
	v_mul_f32_e32 v24, v20, v22
	v_fma_f32 v26, -v12, v24, v20
	v_fmac_f32_e32 v24, v26, v22
	v_fma_f32 v25, -v5, v23, 1.0
	v_fma_f32 v12, -v12, v24, v20
	v_div_scale_f32 v20, vcc, 1.0, v4, 1.0
	v_fmac_f32_e32 v23, v25, v23
	v_mul_f32_e32 v25, v20, v23
	v_fma_f32 v26, -v5, v25, v20
	v_fmac_f32_e32 v25, v26, v23
	v_fma_f32 v5, -v5, v25, v20
	v_div_fmas_f32 v5, v5, v23, v25
	s_mov_b64 vcc, s[6:7]
	v_div_fmas_f32 v12, v12, v22, v24
	v_div_fixup_f32 v12, v12, v11, v18
	v_fmac_f32_e32 v11, v18, v12
	v_div_scale_f32 v20, s[4:5], v11, v11, 1.0
	v_rcp_f32_e32 v22, v20
	v_div_fixup_f32 v18, v5, v4, 1.0
	v_div_scale_f32 v4, vcc, 1.0, v11, 1.0
	v_fma_f32 v5, -v20, v22, 1.0
	v_fmac_f32_e32 v22, v5, v22
	v_mul_f32_e32 v5, v4, v22
	v_fma_f32 v23, -v20, v5, v4
	v_cmp_nge_f32_e64 s[8:9], v19, v21
	v_fmac_f32_e32 v5, v23, v22
	s_and_b64 s[0:1], exec, s[8:9]
	v_fma_f32 v4, -v20, v5, v4
	v_cmp_ge_f32_e64 s[2:3], v19, v21
	v_div_fmas_f32 v20, v4, v22, v5
	s_mov_b64 vcc, s[0:1]
	s_cbranch_vccnz .LBB56_60
; %bb.58:                               ;   in Loop: Header=BB56_57 Depth=1
	s_and_b64 vcc, exec, s[16:17]
	s_cbranch_vccz .LBB56_61
; %bb.59:                               ;   in Loop: Header=BB56_57 Depth=1
	s_waitcnt vmcnt(0)
	v_pk_mul_f32 v[4:5], v[6:7], v[10:11] op_sel_hi:[1,0]
	v_pk_add_f32 v[22:23], v[6:7], v[4:5] op_sel:[0,1] op_sel_hi:[1,0]
	v_pk_add_f32 v[4:5], v[6:7], v[4:5] op_sel:[0,1] op_sel_hi:[1,0] neg_lo:[0,1] neg_hi:[0,1]
	v_mov_b32_e32 v23, v5
	v_pk_mul_f32 v[4:5], v[22:23], v[18:19] op_sel_hi:[1,0]
	s_cbranch_execz .LBB56_62
	s_branch .LBB56_63
.LBB56_60:                              ;   in Loop: Header=BB56_57 Depth=1
                                        ; implicit-def: $vgpr4_vgpr5
	v_div_fixup_f32 v20, v20, v11, 1.0
	s_branch .LBB56_64
.LBB56_61:                              ;   in Loop: Header=BB56_57 Depth=1
                                        ; implicit-def: $vgpr4_vgpr5
.LBB56_62:                              ;   in Loop: Header=BB56_57 Depth=1
	s_waitcnt vmcnt(0)
	v_div_scale_f32 v4, s[0:1], v21, v21, v7
	v_rcp_f32_e32 v5, v4
	v_div_scale_f32 v22, vcc, v7, v21, v7
	v_fma_f32 v23, -v4, v5, 1.0
	v_fmac_f32_e32 v5, v23, v5
	v_mul_f32_e32 v23, v22, v5
	v_fma_f32 v24, -v4, v23, v22
	v_fmac_f32_e32 v23, v24, v5
	v_fma_f32 v4, -v4, v23, v22
	v_div_scale_f32 v22, s[0:1], v19, v19, v6
	v_rcp_f32_e32 v24, v22
	v_div_fmas_f32 v4, v4, v5, v23
	v_div_fixup_f32 v5, v4, v21, v7
	v_fma_f32 v4, -v22, v24, 1.0
	v_fmac_f32_e32 v24, v4, v24
	v_div_scale_f32 v4, vcc, v6, v19, v6
	v_mul_f32_e32 v23, v4, v24
	v_fma_f32 v25, -v22, v23, v4
	v_fmac_f32_e32 v23, v25, v24
	v_fma_f32 v4, -v22, v23, v4
	v_div_fmas_f32 v4, v4, v24, v23
	v_div_fixup_f32 v4, v4, v19, v6
.LBB56_63:                              ;   in Loop: Header=BB56_57 Depth=1
	v_div_fixup_f32 v20, v20, v11, 1.0
	s_cbranch_execnz .LBB56_65
.LBB56_64:                              ;   in Loop: Header=BB56_57 Depth=1
	s_waitcnt vmcnt(0)
	v_pk_fma_f32 v[4:5], v[6:7], v[12:13], v[6:7] op_sel:[0,0,1] op_sel_hi:[1,1,0]
	v_pk_fma_f32 v[6:7], v[6:7], v[12:13], v[6:7] op_sel:[0,0,1] op_sel_hi:[1,0,0] neg_lo:[0,0,1] neg_hi:[0,0,1]
	v_mov_b32_e32 v5, v7
	v_pk_mul_f32 v[4:5], v[4:5], v[20:21] op_sel_hi:[1,0]
.LBB56_65:                              ;   in Loop: Header=BB56_57 Depth=1
	s_waitcnt vmcnt(0)
	v_cndmask_b32_e64 v6, 0, 1, s[2:3]
	v_cmp_ne_u32_e64 s[0:1], 1, v6
	s_andn2_b64 vcc, exec, s[2:3]
	s_cbranch_vccnz .LBB56_68
; %bb.66:                               ;   in Loop: Header=BB56_57 Depth=1
	s_andn2_b64 vcc, exec, s[16:17]
	s_cbranch_vccnz .LBB56_69
; %bb.67:                               ;   in Loop: Header=BB56_57 Depth=1
	v_pk_mul_f32 v[6:7], v[8:9], v[10:11] op_sel_hi:[1,0]
	v_pk_add_f32 v[22:23], v[8:9], v[6:7] op_sel:[0,1] op_sel_hi:[1,0]
	v_pk_add_f32 v[6:7], v[8:9], v[6:7] op_sel:[0,1] op_sel_hi:[1,0] neg_lo:[0,1] neg_hi:[0,1]
	v_mov_b32_e32 v23, v7
	v_pk_mul_f32 v[6:7], v[22:23], v[18:19] op_sel_hi:[1,0]
	s_cbranch_execz .LBB56_70
	s_branch .LBB56_71
.LBB56_68:                              ;   in Loop: Header=BB56_57 Depth=1
	s_branch .LBB56_72
.LBB56_69:                              ;   in Loop: Header=BB56_57 Depth=1
.LBB56_70:                              ;   in Loop: Header=BB56_57 Depth=1
	v_div_scale_f32 v6, s[2:3], v21, v21, v9
	v_rcp_f32_e32 v7, v6
	v_div_scale_f32 v11, vcc, v9, v21, v9
	v_fma_f32 v22, -v6, v7, 1.0
	v_fmac_f32_e32 v7, v22, v7
	v_mul_f32_e32 v22, v11, v7
	v_fma_f32 v23, -v6, v22, v11
	v_fmac_f32_e32 v22, v23, v7
	v_fma_f32 v6, -v6, v22, v11
	v_div_scale_f32 v11, s[2:3], v19, v19, v8
	v_rcp_f32_e32 v23, v11
	v_div_fmas_f32 v6, v6, v7, v22
	v_div_fixup_f32 v7, v6, v21, v9
	v_fma_f32 v6, -v11, v23, 1.0
	v_fmac_f32_e32 v23, v6, v23
	v_div_scale_f32 v6, vcc, v8, v19, v8
	v_mul_f32_e32 v22, v6, v23
	v_fma_f32 v24, -v11, v22, v6
	v_fmac_f32_e32 v22, v24, v23
	v_fma_f32 v6, -v11, v22, v6
	v_div_fmas_f32 v6, v6, v23, v22
	v_div_fixup_f32 v6, v6, v19, v8
.LBB56_71:                              ;   in Loop: Header=BB56_57 Depth=1
	s_cbranch_execnz .LBB56_73
.LBB56_72:                              ;   in Loop: Header=BB56_57 Depth=1
	v_pk_fma_f32 v[6:7], v[8:9], v[12:13], v[8:9] op_sel:[0,0,1] op_sel_hi:[1,1,0]
	v_pk_fma_f32 v[8:9], v[8:9], v[12:13], v[8:9] op_sel:[0,0,1] op_sel_hi:[1,0,0] neg_lo:[0,0,1] neg_hi:[0,0,1]
	v_mov_b32_e32 v7, v9
	v_pk_mul_f32 v[6:7], v[6:7], v[20:21] op_sel_hi:[1,0]
.LBB56_73:                              ;   in Loop: Header=BB56_57 Depth=1
	s_and_b64 vcc, exec, s[0:1]
	s_cbranch_vccnz .LBB56_76
; %bb.74:                               ;   in Loop: Header=BB56_57 Depth=1
	s_andn2_b64 vcc, exec, s[16:17]
	s_cbranch_vccnz .LBB56_77
; %bb.75:                               ;   in Loop: Header=BB56_57 Depth=1
	v_pk_mul_f32 v[8:9], v[0:1], v[10:11] op_sel_hi:[1,0]
	v_pk_add_f32 v[22:23], v[0:1], v[8:9] op_sel:[0,1] op_sel_hi:[1,0]
	v_pk_add_f32 v[8:9], v[0:1], v[8:9] op_sel:[0,1] op_sel_hi:[1,0] neg_lo:[0,1] neg_hi:[0,1]
	v_mov_b32_e32 v23, v9
	v_pk_mul_f32 v[8:9], v[22:23], v[18:19] op_sel_hi:[1,0]
	s_cbranch_execz .LBB56_78
	s_branch .LBB56_79
.LBB56_76:                              ;   in Loop: Header=BB56_57 Depth=1
                                        ; implicit-def: $vgpr8_vgpr9
	s_branch .LBB56_80
.LBB56_77:                              ;   in Loop: Header=BB56_57 Depth=1
                                        ; implicit-def: $vgpr8_vgpr9
.LBB56_78:                              ;   in Loop: Header=BB56_57 Depth=1
	v_div_scale_f32 v8, s[2:3], v21, v21, v1
	v_rcp_f32_e32 v9, v8
	v_div_scale_f32 v11, vcc, v1, v21, v1
	v_fma_f32 v22, -v8, v9, 1.0
	v_fmac_f32_e32 v9, v22, v9
	v_mul_f32_e32 v22, v11, v9
	v_fma_f32 v23, -v8, v22, v11
	v_fmac_f32_e32 v22, v23, v9
	v_fma_f32 v8, -v8, v22, v11
	v_div_scale_f32 v11, s[2:3], v19, v19, v0
	v_rcp_f32_e32 v23, v11
	v_div_fmas_f32 v8, v8, v9, v22
	v_div_fixup_f32 v9, v8, v21, v1
	v_fma_f32 v8, -v11, v23, 1.0
	v_fmac_f32_e32 v23, v8, v23
	v_div_scale_f32 v8, vcc, v0, v19, v0
	v_mul_f32_e32 v22, v8, v23
	v_fma_f32 v24, -v11, v22, v8
	v_fmac_f32_e32 v22, v24, v23
	v_fma_f32 v8, -v11, v22, v8
	v_div_fmas_f32 v8, v8, v23, v22
	v_div_fixup_f32 v8, v8, v19, v0
.LBB56_79:                              ;   in Loop: Header=BB56_57 Depth=1
	s_cbranch_execnz .LBB56_81
.LBB56_80:                              ;   in Loop: Header=BB56_57 Depth=1
	v_pk_fma_f32 v[8:9], v[0:1], v[12:13], v[0:1] op_sel:[0,0,1] op_sel_hi:[1,1,0]
	v_pk_fma_f32 v[0:1], v[0:1], v[12:13], v[0:1] op_sel:[0,0,1] op_sel_hi:[1,0,0] neg_lo:[0,0,1] neg_hi:[0,0,1]
	v_mov_b32_e32 v9, v1
	v_pk_mul_f32 v[8:9], v[8:9], v[20:21] op_sel_hi:[1,0]
.LBB56_81:                              ;   in Loop: Header=BB56_57 Depth=1
	s_and_b64 vcc, exec, s[0:1]
	s_cbranch_vccnz .LBB56_84
; %bb.82:                               ;   in Loop: Header=BB56_57 Depth=1
	s_andn2_b64 vcc, exec, s[16:17]
	s_cbranch_vccnz .LBB56_85
; %bb.83:                               ;   in Loop: Header=BB56_57 Depth=1
	v_pk_mul_f32 v[0:1], v[2:3], v[10:11] op_sel_hi:[1,0]
	v_pk_add_f32 v[10:11], v[2:3], v[0:1] op_sel:[0,1] op_sel_hi:[1,0]
	v_pk_add_f32 v[0:1], v[2:3], v[0:1] op_sel:[0,1] op_sel_hi:[1,0] neg_lo:[0,1] neg_hi:[0,1]
	v_mov_b32_e32 v11, v1
	v_pk_mul_f32 v[10:11], v[10:11], v[18:19] op_sel_hi:[1,0]
	s_cbranch_execz .LBB56_86
	s_branch .LBB56_87
.LBB56_84:                              ;   in Loop: Header=BB56_57 Depth=1
	s_branch .LBB56_88
.LBB56_85:                              ;   in Loop: Header=BB56_57 Depth=1
.LBB56_86:                              ;   in Loop: Header=BB56_57 Depth=1
	v_div_scale_f32 v0, s[0:1], v21, v21, v3
	v_rcp_f32_e32 v1, v0
	v_div_scale_f32 v10, vcc, v3, v21, v3
	v_fma_f32 v11, -v0, v1, 1.0
	v_fmac_f32_e32 v1, v11, v1
	v_mul_f32_e32 v11, v10, v1
	v_fma_f32 v18, -v0, v11, v10
	v_fmac_f32_e32 v11, v18, v1
	v_fma_f32 v0, -v0, v11, v10
	v_div_scale_f32 v10, s[0:1], v19, v19, v2
	v_rcp_f32_e32 v18, v10
	v_div_fmas_f32 v0, v0, v1, v11
	v_div_fixup_f32 v11, v0, v21, v3
	v_fma_f32 v0, -v10, v18, 1.0
	v_fmac_f32_e32 v18, v0, v18
	v_div_scale_f32 v0, vcc, v2, v19, v2
	v_mul_f32_e32 v1, v0, v18
	v_fma_f32 v21, -v10, v1, v0
	v_fmac_f32_e32 v1, v21, v18
	v_fma_f32 v0, -v10, v1, v0
	v_div_fmas_f32 v0, v0, v18, v1
	v_div_fixup_f32 v10, v0, v19, v2
.LBB56_87:                              ;   in Loop: Header=BB56_57 Depth=1
	s_cbranch_execnz .LBB56_56
.LBB56_88:                              ;   in Loop: Header=BB56_57 Depth=1
	v_pk_fma_f32 v[0:1], v[2:3], v[12:13], v[2:3] op_sel:[0,0,1] op_sel_hi:[1,1,0]
	v_pk_fma_f32 v[2:3], v[2:3], v[12:13], v[2:3] op_sel:[0,0,1] op_sel_hi:[1,0,0] neg_lo:[0,0,1] neg_hi:[0,0,1]
	v_mov_b32_e32 v1, v3
	v_pk_mul_f32 v[10:11], v[0:1], v[20:21] op_sel_hi:[1,0]
	s_branch .LBB56_56
.LBB56_89:
	s_endpgm
	.section	.rodata,"a",@progbits
	.p2align	6, 0x0
	.amdhsa_kernel _ZN2at6native12_GLOBAL__N_125multi_tensor_apply_kernelINS1_18TensorListMetadataILi1EEENS1_27BinaryOpScalarTensorFunctorIN3c107complexIfEELi1ELi1ELi0EEEJSt7dividesIS8_EPS8_S8_EEEvT_T0_DpT1_
		.amdhsa_group_segment_fixed_size 0
		.amdhsa_private_segment_fixed_size 0
		.amdhsa_kernarg_size 3648
		.amdhsa_user_sgpr_count 6
		.amdhsa_user_sgpr_private_segment_buffer 1
		.amdhsa_user_sgpr_dispatch_ptr 0
		.amdhsa_user_sgpr_queue_ptr 0
		.amdhsa_user_sgpr_kernarg_segment_ptr 1
		.amdhsa_user_sgpr_dispatch_id 0
		.amdhsa_user_sgpr_flat_scratch_init 0
		.amdhsa_user_sgpr_kernarg_preload_length 0
		.amdhsa_user_sgpr_kernarg_preload_offset 0
		.amdhsa_user_sgpr_private_segment_size 0
		.amdhsa_uses_dynamic_stack 0
		.amdhsa_system_sgpr_private_segment_wavefront_offset 0
		.amdhsa_system_sgpr_workgroup_id_x 1
		.amdhsa_system_sgpr_workgroup_id_y 0
		.amdhsa_system_sgpr_workgroup_id_z 0
		.amdhsa_system_sgpr_workgroup_info 0
		.amdhsa_system_vgpr_workitem_id 0
		.amdhsa_next_free_vgpr 34
		.amdhsa_next_free_sgpr 46
		.amdhsa_accum_offset 36
		.amdhsa_reserve_vcc 1
		.amdhsa_reserve_flat_scratch 0
		.amdhsa_float_round_mode_32 0
		.amdhsa_float_round_mode_16_64 0
		.amdhsa_float_denorm_mode_32 3
		.amdhsa_float_denorm_mode_16_64 3
		.amdhsa_dx10_clamp 1
		.amdhsa_ieee_mode 1
		.amdhsa_fp16_overflow 0
		.amdhsa_tg_split 0
		.amdhsa_exception_fp_ieee_invalid_op 0
		.amdhsa_exception_fp_denorm_src 0
		.amdhsa_exception_fp_ieee_div_zero 0
		.amdhsa_exception_fp_ieee_overflow 0
		.amdhsa_exception_fp_ieee_underflow 0
		.amdhsa_exception_fp_ieee_inexact 0
		.amdhsa_exception_int_div_zero 0
	.end_amdhsa_kernel
	.section	.text._ZN2at6native12_GLOBAL__N_125multi_tensor_apply_kernelINS1_18TensorListMetadataILi1EEENS1_27BinaryOpScalarTensorFunctorIN3c107complexIfEELi1ELi1ELi0EEEJSt7dividesIS8_EPS8_S8_EEEvT_T0_DpT1_,"axG",@progbits,_ZN2at6native12_GLOBAL__N_125multi_tensor_apply_kernelINS1_18TensorListMetadataILi1EEENS1_27BinaryOpScalarTensorFunctorIN3c107complexIfEELi1ELi1ELi0EEEJSt7dividesIS8_EPS8_S8_EEEvT_T0_DpT1_,comdat
.Lfunc_end56:
	.size	_ZN2at6native12_GLOBAL__N_125multi_tensor_apply_kernelINS1_18TensorListMetadataILi1EEENS1_27BinaryOpScalarTensorFunctorIN3c107complexIfEELi1ELi1ELi0EEEJSt7dividesIS8_EPS8_S8_EEEvT_T0_DpT1_, .Lfunc_end56-_ZN2at6native12_GLOBAL__N_125multi_tensor_apply_kernelINS1_18TensorListMetadataILi1EEENS1_27BinaryOpScalarTensorFunctorIN3c107complexIfEELi1ELi1ELi0EEEJSt7dividesIS8_EPS8_S8_EEEvT_T0_DpT1_
                                        ; -- End function
	.section	.AMDGPU.csdata,"",@progbits
; Kernel info:
; codeLenInByte = 3816
; NumSgprs: 50
; NumVgprs: 34
; NumAgprs: 0
; TotalNumVgprs: 34
; ScratchSize: 0
; MemoryBound: 0
; FloatMode: 240
; IeeeMode: 1
; LDSByteSize: 0 bytes/workgroup (compile time only)
; SGPRBlocks: 6
; VGPRBlocks: 4
; NumSGPRsForWavesPerEU: 50
; NumVGPRsForWavesPerEU: 34
; AccumOffset: 36
; Occupancy: 8
; WaveLimiterHint : 0
; COMPUTE_PGM_RSRC2:SCRATCH_EN: 0
; COMPUTE_PGM_RSRC2:USER_SGPR: 6
; COMPUTE_PGM_RSRC2:TRAP_HANDLER: 0
; COMPUTE_PGM_RSRC2:TGID_X_EN: 1
; COMPUTE_PGM_RSRC2:TGID_Y_EN: 0
; COMPUTE_PGM_RSRC2:TGID_Z_EN: 0
; COMPUTE_PGM_RSRC2:TIDIG_COMP_CNT: 0
; COMPUTE_PGM_RSRC3_GFX90A:ACCUM_OFFSET: 8
; COMPUTE_PGM_RSRC3_GFX90A:TG_SPLIT: 0
	.section	.text._ZN2at6native12_GLOBAL__N_125multi_tensor_apply_kernelINS1_18TensorListMetadataILi1EEENS1_27BinaryOpScalarTensorFunctorIbLi1ELi1ELi0EEEJSt7dividesIbEPbbEEEvT_T0_DpT1_,"axG",@progbits,_ZN2at6native12_GLOBAL__N_125multi_tensor_apply_kernelINS1_18TensorListMetadataILi1EEENS1_27BinaryOpScalarTensorFunctorIbLi1ELi1ELi0EEEJSt7dividesIbEPbbEEEvT_T0_DpT1_,comdat
	.globl	_ZN2at6native12_GLOBAL__N_125multi_tensor_apply_kernelINS1_18TensorListMetadataILi1EEENS1_27BinaryOpScalarTensorFunctorIbLi1ELi1ELi0EEEJSt7dividesIbEPbbEEEvT_T0_DpT1_ ; -- Begin function _ZN2at6native12_GLOBAL__N_125multi_tensor_apply_kernelINS1_18TensorListMetadataILi1EEENS1_27BinaryOpScalarTensorFunctorIbLi1ELi1ELi0EEEJSt7dividesIbEPbbEEEvT_T0_DpT1_
	.p2align	8
	.type	_ZN2at6native12_GLOBAL__N_125multi_tensor_apply_kernelINS1_18TensorListMetadataILi1EEENS1_27BinaryOpScalarTensorFunctorIbLi1ELi1ELi0EEEJSt7dividesIbEPbbEEEvT_T0_DpT1_,@function
_ZN2at6native12_GLOBAL__N_125multi_tensor_apply_kernelINS1_18TensorListMetadataILi1EEENS1_27BinaryOpScalarTensorFunctorIbLi1ELi1ELi0EEEJSt7dividesIbEPbbEEEvT_T0_DpT1_: ; @_ZN2at6native12_GLOBAL__N_125multi_tensor_apply_kernelINS1_18TensorListMetadataILi1EEENS1_27BinaryOpScalarTensorFunctorIbLi1ELi1ELi0EEEJSt7dividesIbEPbbEEEvT_T0_DpT1_
; %bb.0:
	v_mov_b32_e32 v1, s6
	global_load_ubyte v1, v1, s[4:5] offset:1760
	s_add_u32 s0, s4, s6
	s_mul_hi_u32 s1, s6, 3
	s_mul_i32 s6, s6, 3
	s_addc_u32 s2, s5, 0
	s_add_u32 s0, s0, s6
	s_addc_u32 s1, s2, s1
	s_load_dword s0, s[0:1], 0x820
	s_waitcnt vmcnt(0)
	v_readfirstlane_b32 s2, v1
	s_lshl_b32 s1, s2, 3
	s_load_dwordx2 s[8:9], s[4:5], s1 offset:0x370
	s_load_dwordx2 s[2:3], s[4:5], s1 offset:0x0
	s_waitcnt lgkmcnt(0)
	s_ashr_i32 s1, s0, 31
	s_lshl_b64 s[6:7], s[0:1], 16
	s_sub_u32 s0, s8, s6
	s_subb_u32 s1, s9, s7
	s_or_b32 s8, s8, s2
	s_and_b32 s10, s8, 3
	s_cmp_lg_u32 s10, 0
	v_cmp_gt_i64_e64 s[8:9], s[0:1], 0
	s_cselect_b64 s[10:11], -1, 0
	s_and_b64 s[8:9], s[10:11], s[8:9]
	s_andn2_b64 vcc, exec, s[8:9]
	s_mov_b64 s[8:9], 0
	s_cbranch_vccnz .LBB57_19
; %bb.1:
	s_load_dword s4, s[4:5], 0xd4c
	v_mov_b32_e32 v2, 0x10000
	v_mov_b32_e32 v3, 0
	v_cmp_lt_u64_e32 vcc, s[0:1], v[2:3]
	v_mov_b32_e32 v1, s7
	s_waitcnt lgkmcnt(0)
	s_and_b32 s12, s4, 0xffff
	s_and_b64 s[4:5], vcc, exec
	s_cselect_b32 s11, s1, 0
	s_cselect_b32 s10, s0, 0x10000
	s_lshl_b32 s13, s12, 1
	s_mul_i32 s4, s12, 3
	s_lshl_b32 s14, s12, 2
	v_add_co_u32_e32 v4, vcc, s6, v0
	s_add_u32 s5, s6, s4
	v_addc_co_u32_e32 v5, vcc, 0, v1, vcc
	s_addc_u32 s15, s7, 0
	v_mov_b32_e32 v6, s3
	v_add_co_u32_e32 v1, vcc, s2, v4
	s_add_u32 s5, s2, s5
	v_addc_co_u32_e32 v6, vcc, v6, v5, vcc
	s_addc_u32 s15, s3, s15
	v_mov_b32_e32 v8, s15
	v_add_co_u32_e32 v7, vcc, s5, v0
	v_addc_co_u32_e32 v8, vcc, 0, v8, vcc
	v_add_co_u32_e32 v9, vcc, s4, v0
	v_addc_co_u32_e64 v10, s[4:5], 0, 0, vcc
	s_add_u32 s4, s6, s13
	s_addc_u32 s5, s7, 0
	s_add_u32 s4, s2, s4
	s_addc_u32 s5, s3, s5
	v_mov_b32_e32 v12, s5
	v_add_co_u32_e32 v11, vcc, s4, v0
	v_addc_co_u32_e32 v12, vcc, 0, v12, vcc
	s_add_u32 s2, s2, s12
	v_add_co_u32_e32 v13, vcc, s13, v0
	s_addc_u32 s3, s3, 0
	v_addc_co_u32_e64 v14, s[4:5], 0, 0, vcc
	v_mov_b32_e32 v16, s3
	v_add_co_u32_e32 v15, vcc, s2, v4
	v_addc_co_u32_e32 v16, vcc, v16, v5, vcc
	v_add_co_u32_e32 v17, vcc, s12, v0
	v_addc_co_u32_e64 v18, s[2:3], 0, 0, vcc
	v_pk_mov_b32 v[4:5], s[0:1], s[0:1] op_sel:[0,1]
	s_branch .LBB57_3
.LBB57_2:                               ;   in Loop: Header=BB57_3 Depth=1
	s_or_b64 exec, exec, s[0:1]
	s_add_u32 s8, s8, s14
	s_addc_u32 s9, s9, 0
	v_cmp_lt_i64_e32 vcc, s[8:9], v[4:5]
	v_cmp_lt_u64_e64 s[0:1], s[8:9], v[2:3]
	s_and_b64 s[0:1], vcc, s[0:1]
	s_and_b64 vcc, exec, s[0:1]
	s_cbranch_vccz .LBB57_19
.LBB57_3:                               ; =>This Inner Loop Header: Depth=1
	s_waitcnt vmcnt(0)
	v_mov_b32_e32 v19, s9
	v_add_co_u32_e32 v20, vcc, s8, v0
	v_addc_co_u32_e32 v21, vcc, 0, v19, vcc
	v_cmp_gt_u64_e32 vcc, s[10:11], v[20:21]
	v_mov_b32_e32 v19, 0
	s_and_saveexec_b64 s[2:3], vcc
	s_cbranch_execz .LBB57_5
; %bb.4:                                ;   in Loop: Header=BB57_3 Depth=1
	v_mov_b32_e32 v19, s9
	v_add_co_u32_e64 v20, s[0:1], s8, v1
	v_addc_co_u32_e64 v21, s[0:1], v6, v19, s[0:1]
	global_load_ubyte v19, v[20:21], off
.LBB57_5:                               ;   in Loop: Header=BB57_3 Depth=1
	s_or_b64 exec, exec, s[2:3]
	v_mov_b32_e32 v21, s9
	v_add_co_u32_e64 v20, s[0:1], s8, v17
	v_addc_co_u32_e64 v21, s[0:1], v18, v21, s[0:1]
	v_cmp_gt_u64_e64 s[0:1], s[10:11], v[20:21]
	v_mov_b32_e32 v21, 0
	s_and_saveexec_b64 s[4:5], s[0:1]
	s_cbranch_execz .LBB57_7
; %bb.6:                                ;   in Loop: Header=BB57_3 Depth=1
	v_mov_b32_e32 v21, s9
	v_add_co_u32_e64 v20, s[2:3], s8, v15
	v_addc_co_u32_e64 v21, s[2:3], v16, v21, s[2:3]
	global_load_ubyte v21, v[20:21], off
.LBB57_7:                               ;   in Loop: Header=BB57_3 Depth=1
	s_or_b64 exec, exec, s[4:5]
	v_mov_b32_e32 v20, s9
	v_add_co_u32_e64 v22, s[2:3], s8, v13
	v_addc_co_u32_e64 v23, s[2:3], v14, v20, s[2:3]
	v_cmp_gt_u64_e64 s[2:3], s[10:11], v[22:23]
	v_mov_b32_e32 v20, 0
	v_mov_b32_e32 v22, 0
	s_and_saveexec_b64 s[6:7], s[2:3]
	s_cbranch_execz .LBB57_9
; %bb.8:                                ;   in Loop: Header=BB57_3 Depth=1
	v_mov_b32_e32 v23, s9
	v_add_co_u32_e64 v22, s[4:5], s8, v11
	v_addc_co_u32_e64 v23, s[4:5], v12, v23, s[4:5]
	global_load_ubyte v22, v[22:23], off
.LBB57_9:                               ;   in Loop: Header=BB57_3 Depth=1
	s_or_b64 exec, exec, s[6:7]
	v_mov_b32_e32 v23, s9
	v_add_co_u32_e64 v24, s[4:5], s8, v9
	v_addc_co_u32_e64 v25, s[4:5], v10, v23, s[4:5]
	v_cmp_gt_u64_e64 s[4:5], s[10:11], v[24:25]
	s_and_saveexec_b64 s[12:13], s[4:5]
	s_cbranch_execnz .LBB57_14
; %bb.10:                               ;   in Loop: Header=BB57_3 Depth=1
	s_or_b64 exec, exec, s[12:13]
	s_and_saveexec_b64 s[6:7], vcc
	s_cbranch_execnz .LBB57_15
.LBB57_11:                              ;   in Loop: Header=BB57_3 Depth=1
	s_or_b64 exec, exec, s[6:7]
	s_and_saveexec_b64 s[6:7], s[0:1]
	s_cbranch_execnz .LBB57_16
.LBB57_12:                              ;   in Loop: Header=BB57_3 Depth=1
	s_or_b64 exec, exec, s[6:7]
	s_and_saveexec_b64 s[0:1], s[2:3]
	s_cbranch_execnz .LBB57_17
.LBB57_13:                              ;   in Loop: Header=BB57_3 Depth=1
	s_or_b64 exec, exec, s[0:1]
	s_and_saveexec_b64 s[0:1], s[4:5]
	s_cbranch_execz .LBB57_2
	s_branch .LBB57_18
.LBB57_14:                              ;   in Loop: Header=BB57_3 Depth=1
	v_mov_b32_e32 v20, s9
	v_add_co_u32_e64 v24, s[6:7], s8, v7
	v_addc_co_u32_e64 v25, s[6:7], v8, v20, s[6:7]
	global_load_ubyte v20, v[24:25], off
	s_or_b64 exec, exec, s[12:13]
	s_and_saveexec_b64 s[6:7], vcc
	s_cbranch_execz .LBB57_11
.LBB57_15:                              ;   in Loop: Header=BB57_3 Depth=1
	v_mov_b32_e32 v23, s9
	v_add_co_u32_e32 v24, vcc, s8, v1
	v_addc_co_u32_e32 v25, vcc, v6, v23, vcc
	s_waitcnt vmcnt(0)
	global_store_byte v[24:25], v19, off
	s_or_b64 exec, exec, s[6:7]
	s_and_saveexec_b64 s[6:7], s[0:1]
	s_cbranch_execz .LBB57_12
.LBB57_16:                              ;   in Loop: Header=BB57_3 Depth=1
	s_waitcnt vmcnt(0)
	v_mov_b32_e32 v19, s9
	v_add_co_u32_e32 v24, vcc, s8, v15
	v_addc_co_u32_e32 v25, vcc, v16, v19, vcc
	global_store_byte v[24:25], v21, off
	s_or_b64 exec, exec, s[6:7]
	s_and_saveexec_b64 s[0:1], s[2:3]
	s_cbranch_execz .LBB57_13
.LBB57_17:                              ;   in Loop: Header=BB57_3 Depth=1
	s_waitcnt vmcnt(0)
	v_mov_b32_e32 v19, s9
	v_add_co_u32_e32 v24, vcc, s8, v11
	v_addc_co_u32_e32 v25, vcc, v12, v19, vcc
	global_store_byte v[24:25], v22, off
	s_or_b64 exec, exec, s[0:1]
	s_and_saveexec_b64 s[0:1], s[4:5]
	s_cbranch_execz .LBB57_2
.LBB57_18:                              ;   in Loop: Header=BB57_3 Depth=1
	s_waitcnt vmcnt(0)
	v_mov_b32_e32 v19, s9
	v_add_co_u32_e32 v22, vcc, s8, v7
	v_addc_co_u32_e32 v23, vcc, v8, v19, vcc
	global_store_byte v[22:23], v20, off
	s_branch .LBB57_2
.LBB57_19:
	s_endpgm
	.section	.rodata,"a",@progbits
	.p2align	6, 0x0
	.amdhsa_kernel _ZN2at6native12_GLOBAL__N_125multi_tensor_apply_kernelINS1_18TensorListMetadataILi1EEENS1_27BinaryOpScalarTensorFunctorIbLi1ELi1ELi0EEEJSt7dividesIbEPbbEEEvT_T0_DpT1_
		.amdhsa_group_segment_fixed_size 0
		.amdhsa_private_segment_fixed_size 0
		.amdhsa_kernarg_size 3648
		.amdhsa_user_sgpr_count 6
		.amdhsa_user_sgpr_private_segment_buffer 1
		.amdhsa_user_sgpr_dispatch_ptr 0
		.amdhsa_user_sgpr_queue_ptr 0
		.amdhsa_user_sgpr_kernarg_segment_ptr 1
		.amdhsa_user_sgpr_dispatch_id 0
		.amdhsa_user_sgpr_flat_scratch_init 0
		.amdhsa_user_sgpr_kernarg_preload_length 0
		.amdhsa_user_sgpr_kernarg_preload_offset 0
		.amdhsa_user_sgpr_private_segment_size 0
		.amdhsa_uses_dynamic_stack 0
		.amdhsa_system_sgpr_private_segment_wavefront_offset 0
		.amdhsa_system_sgpr_workgroup_id_x 1
		.amdhsa_system_sgpr_workgroup_id_y 0
		.amdhsa_system_sgpr_workgroup_id_z 0
		.amdhsa_system_sgpr_workgroup_info 0
		.amdhsa_system_vgpr_workitem_id 0
		.amdhsa_next_free_vgpr 26
		.amdhsa_next_free_sgpr 16
		.amdhsa_accum_offset 28
		.amdhsa_reserve_vcc 1
		.amdhsa_reserve_flat_scratch 0
		.amdhsa_float_round_mode_32 0
		.amdhsa_float_round_mode_16_64 0
		.amdhsa_float_denorm_mode_32 3
		.amdhsa_float_denorm_mode_16_64 3
		.amdhsa_dx10_clamp 1
		.amdhsa_ieee_mode 1
		.amdhsa_fp16_overflow 0
		.amdhsa_tg_split 0
		.amdhsa_exception_fp_ieee_invalid_op 0
		.amdhsa_exception_fp_denorm_src 0
		.amdhsa_exception_fp_ieee_div_zero 0
		.amdhsa_exception_fp_ieee_overflow 0
		.amdhsa_exception_fp_ieee_underflow 0
		.amdhsa_exception_fp_ieee_inexact 0
		.amdhsa_exception_int_div_zero 0
	.end_amdhsa_kernel
	.section	.text._ZN2at6native12_GLOBAL__N_125multi_tensor_apply_kernelINS1_18TensorListMetadataILi1EEENS1_27BinaryOpScalarTensorFunctorIbLi1ELi1ELi0EEEJSt7dividesIbEPbbEEEvT_T0_DpT1_,"axG",@progbits,_ZN2at6native12_GLOBAL__N_125multi_tensor_apply_kernelINS1_18TensorListMetadataILi1EEENS1_27BinaryOpScalarTensorFunctorIbLi1ELi1ELi0EEEJSt7dividesIbEPbbEEEvT_T0_DpT1_,comdat
.Lfunc_end57:
	.size	_ZN2at6native12_GLOBAL__N_125multi_tensor_apply_kernelINS1_18TensorListMetadataILi1EEENS1_27BinaryOpScalarTensorFunctorIbLi1ELi1ELi0EEEJSt7dividesIbEPbbEEEvT_T0_DpT1_, .Lfunc_end57-_ZN2at6native12_GLOBAL__N_125multi_tensor_apply_kernelINS1_18TensorListMetadataILi1EEENS1_27BinaryOpScalarTensorFunctorIbLi1ELi1ELi0EEEJSt7dividesIbEPbbEEEvT_T0_DpT1_
                                        ; -- End function
	.section	.AMDGPU.csdata,"",@progbits
; Kernel info:
; codeLenInByte = 860
; NumSgprs: 20
; NumVgprs: 26
; NumAgprs: 0
; TotalNumVgprs: 26
; ScratchSize: 0
; MemoryBound: 0
; FloatMode: 240
; IeeeMode: 1
; LDSByteSize: 0 bytes/workgroup (compile time only)
; SGPRBlocks: 2
; VGPRBlocks: 3
; NumSGPRsForWavesPerEU: 20
; NumVGPRsForWavesPerEU: 26
; AccumOffset: 28
; Occupancy: 8
; WaveLimiterHint : 0
; COMPUTE_PGM_RSRC2:SCRATCH_EN: 0
; COMPUTE_PGM_RSRC2:USER_SGPR: 6
; COMPUTE_PGM_RSRC2:TRAP_HANDLER: 0
; COMPUTE_PGM_RSRC2:TGID_X_EN: 1
; COMPUTE_PGM_RSRC2:TGID_Y_EN: 0
; COMPUTE_PGM_RSRC2:TGID_Z_EN: 0
; COMPUTE_PGM_RSRC2:TIDIG_COMP_CNT: 0
; COMPUTE_PGM_RSRC3_GFX90A:ACCUM_OFFSET: 6
; COMPUTE_PGM_RSRC3_GFX90A:TG_SPLIT: 0
	.section	.text._ZN2at6native12_GLOBAL__N_125multi_tensor_apply_kernelINS1_18TensorListMetadataILi1EEENS1_27BinaryOpScalarTensorFunctorIN3c104HalfELi1ELi1ELi0EEEJSt7dividesIfEPS7_fEEEvT_T0_DpT1_,"axG",@progbits,_ZN2at6native12_GLOBAL__N_125multi_tensor_apply_kernelINS1_18TensorListMetadataILi1EEENS1_27BinaryOpScalarTensorFunctorIN3c104HalfELi1ELi1ELi0EEEJSt7dividesIfEPS7_fEEEvT_T0_DpT1_,comdat
	.globl	_ZN2at6native12_GLOBAL__N_125multi_tensor_apply_kernelINS1_18TensorListMetadataILi1EEENS1_27BinaryOpScalarTensorFunctorIN3c104HalfELi1ELi1ELi0EEEJSt7dividesIfEPS7_fEEEvT_T0_DpT1_ ; -- Begin function _ZN2at6native12_GLOBAL__N_125multi_tensor_apply_kernelINS1_18TensorListMetadataILi1EEENS1_27BinaryOpScalarTensorFunctorIN3c104HalfELi1ELi1ELi0EEEJSt7dividesIfEPS7_fEEEvT_T0_DpT1_
	.p2align	8
	.type	_ZN2at6native12_GLOBAL__N_125multi_tensor_apply_kernelINS1_18TensorListMetadataILi1EEENS1_27BinaryOpScalarTensorFunctorIN3c104HalfELi1ELi1ELi0EEEJSt7dividesIfEPS7_fEEEvT_T0_DpT1_,@function
_ZN2at6native12_GLOBAL__N_125multi_tensor_apply_kernelINS1_18TensorListMetadataILi1EEENS1_27BinaryOpScalarTensorFunctorIN3c104HalfELi1ELi1ELi0EEEJSt7dividesIfEPS7_fEEEvT_T0_DpT1_: ; @_ZN2at6native12_GLOBAL__N_125multi_tensor_apply_kernelINS1_18TensorListMetadataILi1EEENS1_27BinaryOpScalarTensorFunctorIN3c104HalfELi1ELi1ELi0EEEJSt7dividesIfEPS7_fEEEvT_T0_DpT1_
; %bb.0:
	v_mov_b32_e32 v1, s6
	global_load_ubyte v1, v1, s[4:5] offset:1760
	s_add_u32 s0, s4, s6
	s_mul_hi_u32 s1, s6, 3
	s_mul_i32 s6, s6, 3
	s_addc_u32 s2, s5, 0
	s_add_u32 s0, s0, s6
	s_addc_u32 s1, s2, s1
	s_load_dword s0, s[0:1], 0x820
	s_mov_b32 s7, 0
	s_load_dword s24, s[4:5], 0xd38
	s_waitcnt vmcnt(0)
	v_readfirstlane_b32 s1, v1
	s_lshl_b32 s1, s1, 3
	s_load_dwordx2 s[10:11], s[4:5], 0xd30
	s_load_dwordx2 s[2:3], s[4:5], s1 offset:0x370
	s_load_dwordx2 s[14:15], s[4:5], s1 offset:0x0
	s_waitcnt lgkmcnt(0)
	s_ashr_i32 s1, s0, 31
	s_lshl_b64 s[16:17], s[0:1], 17
	s_lshl_b64 s[0:1], s[0:1], 16
	s_and_b32 s6, s14, 7
	s_sub_u32 s12, s2, s0
	s_subb_u32 s13, s3, s1
	s_and_b32 s0, s2, 3
	s_mov_b32 s1, s7
	s_or_b64 s[0:1], s[6:7], s[0:1]
	s_cmp_eq_u64 s[0:1], 0
	s_cbranch_scc1 .LBB58_21
; %bb.1:
	v_cmp_lt_i64_e64 s[0:1], s[12:13], 1
	s_and_b64 vcc, exec, s[0:1]
	s_cbranch_vccnz .LBB58_20
; %bb.2:
	s_load_dword s0, s[4:5], 0xd4c
	v_mov_b32_e32 v2, 0x10000
	v_mov_b32_e32 v3, 0
	v_cmp_lt_u64_e32 vcc, s[12:13], v[2:3]
	v_lshlrev_b32_e32 v2, 1, v0
	s_waitcnt lgkmcnt(0)
	s_and_b32 s2, s0, 0xffff
	s_and_b64 s[0:1], vcc, exec
	s_cselect_b32 s19, s13, 0
	s_cselect_b32 s18, s12, 0x10000
	s_lshl_b32 s3, s2, 1
	s_lshl_b32 s26, s2, 2
	s_add_u32 s6, s14, s16
	s_addc_u32 s7, s15, s17
	v_mov_b32_e32 v3, s7
	v_add_co_u32_e32 v2, vcc, s6, v2
	s_mul_i32 s0, s2, 3
	v_addc_co_u32_e32 v3, vcc, 0, v3, vcc
	v_add_co_u32_e32 v8, vcc, s0, v0
	v_addc_co_u32_e64 v9, s[0:1], 0, 0, vcc
	v_add_co_u32_e32 v10, vcc, s3, v0
	v_addc_co_u32_e64 v11, s[0:1], 0, 0, vcc
	v_add_co_u32_e32 v12, vcc, s2, v0
	v_lshlrev_b32_e32 v4, 1, v12
	s_mov_b32 s25, 0
	v_addc_co_u32_e64 v13, s[0:1], 0, 0, vcc
	v_mov_b32_e32 v5, s7
	v_add_co_u32_e32 v4, vcc, s6, v4
	v_mov_b32_e32 v1, 0
	s_lshl_b32 s27, s2, 3
	s_mul_i32 s28, s2, 6
	s_mov_b32 s29, s25
	v_addc_co_u32_e32 v5, vcc, 0, v5, vcc
	s_mov_b64 s[20:21], 0
	v_pk_mov_b32 v[6:7], s[12:13], s[12:13] op_sel:[0,1]
	v_mov_b32_e32 v14, s25
	s_branch .LBB58_4
.LBB58_3:                               ;   in Loop: Header=BB58_4 Depth=1
	s_or_b64 exec, exec, s[2:3]
	s_add_u32 s20, s20, s26
	v_mov_b32_e32 v16, 0x10000
	s_addc_u32 s21, s21, 0
	v_mov_b32_e32 v17, 0
	v_cmp_lt_i64_e32 vcc, s[20:21], v[6:7]
	v_cmp_lt_u64_e64 s[0:1], s[20:21], v[16:17]
	s_and_b64 s[0:1], vcc, s[0:1]
	v_add_co_u32_e32 v2, vcc, s27, v2
	v_addc_co_u32_e32 v3, vcc, v3, v14, vcc
	v_add_co_u32_e32 v4, vcc, s27, v4
	v_addc_co_u32_e32 v5, vcc, v5, v14, vcc
	s_and_b64 vcc, exec, s[0:1]
	s_cbranch_vccz .LBB58_20
.LBB58_4:                               ; =>This Inner Loop Header: Depth=1
	v_mov_b32_e32 v15, s21
	v_add_co_u32_e32 v16, vcc, s20, v0
	v_addc_co_u32_e32 v17, vcc, 0, v15, vcc
	v_cmp_gt_u64_e32 vcc, s[18:19], v[16:17]
	v_mov_b32_e32 v19, 0
	s_and_saveexec_b64 s[0:1], vcc
	s_cbranch_execz .LBB58_6
; %bb.5:                                ;   in Loop: Header=BB58_4 Depth=1
	global_load_ushort v19, v[2:3], off
.LBB58_6:                               ;   in Loop: Header=BB58_4 Depth=1
	s_or_b64 exec, exec, s[0:1]
	v_mov_b32_e32 v15, s21
	v_add_co_u32_e64 v16, s[0:1], s20, v12
	v_addc_co_u32_e64 v17, s[0:1], v13, v15, s[0:1]
	v_cmp_gt_u64_e64 s[6:7], s[18:19], v[16:17]
	v_mov_b32_e32 v16, 0
	v_mov_b32_e32 v18, 0
	s_and_saveexec_b64 s[0:1], s[6:7]
	s_cbranch_execz .LBB58_8
; %bb.7:                                ;   in Loop: Header=BB58_4 Depth=1
	global_load_ushort v18, v[4:5], off
.LBB58_8:                               ;   in Loop: Header=BB58_4 Depth=1
	s_or_b64 exec, exec, s[0:1]
	v_mov_b32_e32 v15, s21
	v_add_co_u32_e64 v20, s[0:1], s20, v10
	v_addc_co_u32_e64 v21, s[0:1], v11, v15, s[0:1]
	v_cmp_gt_u64_e64 s[2:3], s[18:19], v[20:21]
	s_and_saveexec_b64 s[8:9], s[2:3]
	s_cbranch_execz .LBB58_10
; %bb.9:                                ;   in Loop: Header=BB58_4 Depth=1
	v_mov_b32_e32 v15, s25
	v_add_co_u32_e64 v16, s[0:1], s26, v2
	v_addc_co_u32_e64 v17, s[0:1], v3, v15, s[0:1]
	global_load_ushort v16, v[16:17], off
.LBB58_10:                              ;   in Loop: Header=BB58_4 Depth=1
	s_or_b64 exec, exec, s[8:9]
	v_mov_b32_e32 v15, s21
	v_add_co_u32_e64 v20, s[0:1], s20, v8
	v_addc_co_u32_e64 v21, s[0:1], v9, v15, s[0:1]
	v_cmp_gt_u64_e64 s[0:1], s[18:19], v[20:21]
	v_mov_b32_e32 v17, 0
	s_and_saveexec_b64 s[22:23], s[0:1]
	s_cbranch_execz .LBB58_12
; %bb.11:                               ;   in Loop: Header=BB58_4 Depth=1
	v_mov_b32_e32 v15, s29
	v_add_co_u32_e64 v20, s[8:9], s28, v2
	v_addc_co_u32_e64 v21, s[8:9], v3, v15, s[8:9]
	global_load_ushort v17, v[20:21], off
.LBB58_12:                              ;   in Loop: Header=BB58_4 Depth=1
	s_or_b64 exec, exec, s[22:23]
	global_load_ushort v15, v1, s[10:11]
	s_waitcnt vmcnt(0)
	v_cvt_f32_f16_e32 v15, v15
	v_mul_f32_e32 v15, s24, v15
	s_and_saveexec_b64 s[8:9], vcc
	s_cbranch_execnz .LBB58_16
; %bb.13:                               ;   in Loop: Header=BB58_4 Depth=1
	s_or_b64 exec, exec, s[8:9]
	s_and_saveexec_b64 s[8:9], s[6:7]
	s_cbranch_execnz .LBB58_17
.LBB58_14:                              ;   in Loop: Header=BB58_4 Depth=1
	s_or_b64 exec, exec, s[8:9]
	s_and_saveexec_b64 s[6:7], s[2:3]
	s_cbranch_execnz .LBB58_18
.LBB58_15:                              ;   in Loop: Header=BB58_4 Depth=1
	s_or_b64 exec, exec, s[6:7]
	s_and_saveexec_b64 s[2:3], s[0:1]
	s_cbranch_execz .LBB58_3
	s_branch .LBB58_19
.LBB58_16:                              ;   in Loop: Header=BB58_4 Depth=1
	v_cvt_f32_f16_e32 v19, v19
	v_div_scale_f32 v20, s[22:23], v15, v15, v19
	v_rcp_f32_e32 v21, v20
	v_div_scale_f32 v22, vcc, v19, v15, v19
	v_fma_f32 v23, -v20, v21, 1.0
	v_fmac_f32_e32 v21, v23, v21
	v_mul_f32_e32 v23, v22, v21
	v_fma_f32 v24, -v20, v23, v22
	v_fmac_f32_e32 v23, v24, v21
	v_fma_f32 v20, -v20, v23, v22
	v_div_fmas_f32 v20, v20, v21, v23
	v_div_fixup_f32 v19, v20, v15, v19
	v_cvt_f16_f32_e32 v19, v19
	global_store_short v[2:3], v19, off
	s_or_b64 exec, exec, s[8:9]
	s_and_saveexec_b64 s[8:9], s[6:7]
	s_cbranch_execz .LBB58_14
.LBB58_17:                              ;   in Loop: Header=BB58_4 Depth=1
	v_cvt_f32_f16_e32 v18, v18
	v_div_scale_f32 v19, s[6:7], v15, v15, v18
	v_rcp_f32_e32 v20, v19
	v_div_scale_f32 v21, vcc, v18, v15, v18
	v_fma_f32 v22, -v19, v20, 1.0
	v_fmac_f32_e32 v20, v22, v20
	v_mul_f32_e32 v22, v21, v20
	v_fma_f32 v23, -v19, v22, v21
	v_fmac_f32_e32 v22, v23, v20
	v_fma_f32 v19, -v19, v22, v21
	v_div_fmas_f32 v19, v19, v20, v22
	v_div_fixup_f32 v18, v19, v15, v18
	v_cvt_f16_f32_e32 v18, v18
	global_store_short v[4:5], v18, off
	s_or_b64 exec, exec, s[8:9]
	s_and_saveexec_b64 s[6:7], s[2:3]
	s_cbranch_execz .LBB58_15
.LBB58_18:                              ;   in Loop: Header=BB58_4 Depth=1
	v_cvt_f32_f16_e32 v16, v16
	v_mov_b32_e32 v20, s25
	v_div_scale_f32 v18, s[2:3], v15, v15, v16
	v_rcp_f32_e32 v19, v18
	v_div_scale_f32 v21, vcc, v16, v15, v16
	v_fma_f32 v22, -v18, v19, 1.0
	v_fmac_f32_e32 v19, v22, v19
	v_mul_f32_e32 v22, v21, v19
	v_fma_f32 v23, -v18, v22, v21
	v_fmac_f32_e32 v22, v23, v19
	v_fma_f32 v18, -v18, v22, v21
	v_div_fmas_f32 v18, v18, v19, v22
	v_div_fixup_f32 v16, v18, v15, v16
	v_cvt_f16_f32_e32 v16, v16
	v_add_co_u32_e32 v18, vcc, s26, v2
	v_addc_co_u32_e32 v19, vcc, v3, v20, vcc
	global_store_short v[18:19], v16, off
	s_or_b64 exec, exec, s[6:7]
	s_and_saveexec_b64 s[2:3], s[0:1]
	s_cbranch_execz .LBB58_3
.LBB58_19:                              ;   in Loop: Header=BB58_4 Depth=1
	v_cvt_f32_f16_e32 v16, v17
	v_mov_b32_e32 v19, s29
	v_div_scale_f32 v17, s[0:1], v15, v15, v16
	v_rcp_f32_e32 v18, v17
	v_div_scale_f32 v20, vcc, v16, v15, v16
	v_fma_f32 v21, -v17, v18, 1.0
	v_fmac_f32_e32 v18, v21, v18
	v_mul_f32_e32 v21, v20, v18
	v_fma_f32 v22, -v17, v21, v20
	v_fmac_f32_e32 v21, v22, v18
	v_fma_f32 v17, -v17, v21, v20
	v_div_fmas_f32 v17, v17, v18, v21
	v_div_fixup_f32 v15, v17, v15, v16
	v_cvt_f16_f32_e32 v15, v15
	v_add_co_u32_e32 v16, vcc, s28, v2
	v_addc_co_u32_e32 v17, vcc, v3, v19, vcc
	global_store_short v[16:17], v15, off
	s_branch .LBB58_3
.LBB58_20:
	s_cbranch_execz .LBB58_22
	s_branch .LBB58_25
.LBB58_21:
.LBB58_22:
	v_mov_b32_e32 v3, 0
	v_lshlrev_b32_e32 v2, 2, v0
	s_mov_b32 s0, 0
	v_cmp_gt_i64_e32 vcc, s[12:13], v[2:3]
	s_and_saveexec_b64 s[2:3], vcc
	s_cbranch_execz .LBB58_25
; %bb.23:
	s_load_dword s1, s[4:5], 0xd4c
	v_lshlrev_b32_e32 v1, 3, v0
	s_mov_b64 s[6:7], 0
	s_mov_b64 s[8:9], 0xffff
	v_mov_b32_e32 v6, s0
	s_waitcnt lgkmcnt(0)
	s_and_b32 s1, s1, 0xffff
	s_lshl_b32 s18, s1, 2
	s_add_u32 s2, s14, s16
	s_addc_u32 s3, s15, s17
	v_add_lshl_u32 v2, v0, s1, 2
	v_mov_b32_e32 v0, s3
	v_add_co_u32_e32 v1, vcc, s2, v1
	v_addc_co_u32_e32 v4, vcc, 0, v0, vcc
	v_add_co_u32_e32 v0, vcc, 4, v1
	v_addc_co_u32_e32 v1, vcc, 0, v4, vcc
	s_lshl_b32 s14, s1, 3
	v_mov_b32_e32 v7, s0
	v_pk_mov_b32 v[4:5], v[2:3], v[2:3] op_sel:[0,1]
.LBB58_24:                              ; =>This Inner Loop Header: Depth=1
	global_load_ushort v2, v3, s[10:11]
	global_load_dwordx2 v[8:9], v[0:1], off offset:-4
	v_cmp_le_i64_e32 vcc, s[12:13], v[4:5]
	v_cmp_lt_u64_e64 s[0:1], s[8:9], v[4:5]
	s_or_b64 s[16:17], vcc, s[0:1]
	v_add_co_u32_e64 v4, s[2:3], s18, v4
	v_addc_co_u32_e64 v5, s[2:3], v5, v6, s[2:3]
	s_waitcnt vmcnt(1)
	v_cvt_f32_f16_e32 v2, v2
	s_waitcnt vmcnt(0)
	v_cvt_f32_f16_e32 v10, v8
	v_cvt_f32_f16_sdwa v8, v8 dst_sel:DWORD dst_unused:UNUSED_PAD src0_sel:WORD_1
	v_cvt_f32_f16_e32 v11, v9
	v_cvt_f32_f16_sdwa v9, v9 dst_sel:DWORD dst_unused:UNUSED_PAD src0_sel:WORD_1
	v_mul_f32_e32 v2, s24, v2
	v_div_scale_f32 v12, s[0:1], v2, v2, v10
	v_div_scale_f32 v14, s[0:1], v2, v2, v8
	v_rcp_f32_e32 v20, v12
	v_div_scale_f32 v16, s[2:3], v2, v2, v11
	v_rcp_f32_e32 v21, v14
	;; [unrolled: 2-line block ×3, first 2 shown]
	v_rcp_f32_e32 v23, v18
	v_fma_f32 v24, -v12, v20, 1.0
	v_div_scale_f32 v13, vcc, v10, v2, v10
	v_fma_f32 v25, -v14, v21, 1.0
	v_fmac_f32_e32 v20, v24, v20
	v_div_scale_f32 v15, s[0:1], v8, v2, v8
	v_fma_f32 v26, -v16, v22, 1.0
	v_fmac_f32_e32 v21, v25, v21
	v_mul_f32_e32 v24, v13, v20
	v_div_scale_f32 v17, s[2:3], v11, v2, v11
	v_fma_f32 v27, -v18, v23, 1.0
	v_fmac_f32_e32 v22, v26, v22
	v_mul_f32_e32 v25, v15, v21
	v_fma_f32 v28, -v12, v24, v13
	v_div_scale_f32 v19, s[4:5], v9, v2, v9
	v_fmac_f32_e32 v23, v27, v23
	v_mul_f32_e32 v26, v17, v22
	v_fma_f32 v29, -v14, v25, v15
	v_fmac_f32_e32 v24, v28, v20
	v_mul_f32_e32 v27, v19, v23
	v_fma_f32 v30, -v16, v26, v17
	v_fmac_f32_e32 v25, v29, v21
	v_fma_f32 v12, -v12, v24, v13
	v_fma_f32 v31, -v18, v27, v19
	v_fmac_f32_e32 v26, v30, v22
	v_fma_f32 v13, -v14, v25, v15
	v_div_fmas_f32 v12, v12, v20, v24
	s_mov_b64 vcc, s[0:1]
	v_fmac_f32_e32 v27, v31, v23
	v_fma_f32 v14, -v16, v26, v17
	v_div_fixup_f32 v10, v12, v2, v10
	v_div_fmas_f32 v12, v13, v21, v25
	s_mov_b64 vcc, s[2:3]
	v_fma_f32 v15, -v18, v27, v19
	v_div_fixup_f32 v8, v12, v2, v8
	v_div_fmas_f32 v12, v14, v22, v26
	s_mov_b64 vcc, s[4:5]
	v_div_fixup_f32 v11, v12, v2, v11
	v_div_fmas_f32 v12, v15, v23, v27
	v_div_fixup_f32 v2, v12, v2, v9
	v_cvt_f16_f32_e32 v10, v10
	v_cvt_f16_f32_e32 v8, v8
	;; [unrolled: 1-line block ×4, first 2 shown]
	s_and_b64 s[0:1], exec, s[16:17]
	v_pack_b32_f16 v8, v10, v8
	s_or_b64 s[6:7], s[0:1], s[6:7]
	v_pack_b32_f16 v9, v11, v2
	global_store_dwordx2 v[0:1], v[8:9], off offset:-4
	v_add_co_u32_e32 v0, vcc, s14, v0
	v_addc_co_u32_e32 v1, vcc, v1, v7, vcc
	s_andn2_b64 exec, exec, s[6:7]
	s_cbranch_execnz .LBB58_24
.LBB58_25:
	s_endpgm
	.section	.rodata,"a",@progbits
	.p2align	6, 0x0
	.amdhsa_kernel _ZN2at6native12_GLOBAL__N_125multi_tensor_apply_kernelINS1_18TensorListMetadataILi1EEENS1_27BinaryOpScalarTensorFunctorIN3c104HalfELi1ELi1ELi0EEEJSt7dividesIfEPS7_fEEEvT_T0_DpT1_
		.amdhsa_group_segment_fixed_size 0
		.amdhsa_private_segment_fixed_size 0
		.amdhsa_kernarg_size 3648
		.amdhsa_user_sgpr_count 6
		.amdhsa_user_sgpr_private_segment_buffer 1
		.amdhsa_user_sgpr_dispatch_ptr 0
		.amdhsa_user_sgpr_queue_ptr 0
		.amdhsa_user_sgpr_kernarg_segment_ptr 1
		.amdhsa_user_sgpr_dispatch_id 0
		.amdhsa_user_sgpr_flat_scratch_init 0
		.amdhsa_user_sgpr_kernarg_preload_length 0
		.amdhsa_user_sgpr_kernarg_preload_offset 0
		.amdhsa_user_sgpr_private_segment_size 0
		.amdhsa_uses_dynamic_stack 0
		.amdhsa_system_sgpr_private_segment_wavefront_offset 0
		.amdhsa_system_sgpr_workgroup_id_x 1
		.amdhsa_system_sgpr_workgroup_id_y 0
		.amdhsa_system_sgpr_workgroup_id_z 0
		.amdhsa_system_sgpr_workgroup_info 0
		.amdhsa_system_vgpr_workitem_id 0
		.amdhsa_next_free_vgpr 32
		.amdhsa_next_free_sgpr 30
		.amdhsa_accum_offset 32
		.amdhsa_reserve_vcc 1
		.amdhsa_reserve_flat_scratch 0
		.amdhsa_float_round_mode_32 0
		.amdhsa_float_round_mode_16_64 0
		.amdhsa_float_denorm_mode_32 3
		.amdhsa_float_denorm_mode_16_64 3
		.amdhsa_dx10_clamp 1
		.amdhsa_ieee_mode 1
		.amdhsa_fp16_overflow 0
		.amdhsa_tg_split 0
		.amdhsa_exception_fp_ieee_invalid_op 0
		.amdhsa_exception_fp_denorm_src 0
		.amdhsa_exception_fp_ieee_div_zero 0
		.amdhsa_exception_fp_ieee_overflow 0
		.amdhsa_exception_fp_ieee_underflow 0
		.amdhsa_exception_fp_ieee_inexact 0
		.amdhsa_exception_int_div_zero 0
	.end_amdhsa_kernel
	.section	.text._ZN2at6native12_GLOBAL__N_125multi_tensor_apply_kernelINS1_18TensorListMetadataILi1EEENS1_27BinaryOpScalarTensorFunctorIN3c104HalfELi1ELi1ELi0EEEJSt7dividesIfEPS7_fEEEvT_T0_DpT1_,"axG",@progbits,_ZN2at6native12_GLOBAL__N_125multi_tensor_apply_kernelINS1_18TensorListMetadataILi1EEENS1_27BinaryOpScalarTensorFunctorIN3c104HalfELi1ELi1ELi0EEEJSt7dividesIfEPS7_fEEEvT_T0_DpT1_,comdat
.Lfunc_end58:
	.size	_ZN2at6native12_GLOBAL__N_125multi_tensor_apply_kernelINS1_18TensorListMetadataILi1EEENS1_27BinaryOpScalarTensorFunctorIN3c104HalfELi1ELi1ELi0EEEJSt7dividesIfEPS7_fEEEvT_T0_DpT1_, .Lfunc_end58-_ZN2at6native12_GLOBAL__N_125multi_tensor_apply_kernelINS1_18TensorListMetadataILi1EEENS1_27BinaryOpScalarTensorFunctorIN3c104HalfELi1ELi1ELi0EEEJSt7dividesIfEPS7_fEEEvT_T0_DpT1_
                                        ; -- End function
	.section	.AMDGPU.csdata,"",@progbits
; Kernel info:
; codeLenInByte = 1704
; NumSgprs: 34
; NumVgprs: 32
; NumAgprs: 0
; TotalNumVgprs: 32
; ScratchSize: 0
; MemoryBound: 0
; FloatMode: 240
; IeeeMode: 1
; LDSByteSize: 0 bytes/workgroup (compile time only)
; SGPRBlocks: 4
; VGPRBlocks: 3
; NumSGPRsForWavesPerEU: 34
; NumVGPRsForWavesPerEU: 32
; AccumOffset: 32
; Occupancy: 8
; WaveLimiterHint : 0
; COMPUTE_PGM_RSRC2:SCRATCH_EN: 0
; COMPUTE_PGM_RSRC2:USER_SGPR: 6
; COMPUTE_PGM_RSRC2:TRAP_HANDLER: 0
; COMPUTE_PGM_RSRC2:TGID_X_EN: 1
; COMPUTE_PGM_RSRC2:TGID_Y_EN: 0
; COMPUTE_PGM_RSRC2:TGID_Z_EN: 0
; COMPUTE_PGM_RSRC2:TIDIG_COMP_CNT: 0
; COMPUTE_PGM_RSRC3_GFX90A:ACCUM_OFFSET: 7
; COMPUTE_PGM_RSRC3_GFX90A:TG_SPLIT: 0
	.section	.text._ZN2at6native12_GLOBAL__N_125multi_tensor_apply_kernelINS1_18TensorListMetadataILi1EEENS1_27BinaryOpScalarTensorFunctorIN3c108BFloat16ELi1ELi1ELi0EEEJSt7dividesIfEPS7_fEEEvT_T0_DpT1_,"axG",@progbits,_ZN2at6native12_GLOBAL__N_125multi_tensor_apply_kernelINS1_18TensorListMetadataILi1EEENS1_27BinaryOpScalarTensorFunctorIN3c108BFloat16ELi1ELi1ELi0EEEJSt7dividesIfEPS7_fEEEvT_T0_DpT1_,comdat
	.globl	_ZN2at6native12_GLOBAL__N_125multi_tensor_apply_kernelINS1_18TensorListMetadataILi1EEENS1_27BinaryOpScalarTensorFunctorIN3c108BFloat16ELi1ELi1ELi0EEEJSt7dividesIfEPS7_fEEEvT_T0_DpT1_ ; -- Begin function _ZN2at6native12_GLOBAL__N_125multi_tensor_apply_kernelINS1_18TensorListMetadataILi1EEENS1_27BinaryOpScalarTensorFunctorIN3c108BFloat16ELi1ELi1ELi0EEEJSt7dividesIfEPS7_fEEEvT_T0_DpT1_
	.p2align	8
	.type	_ZN2at6native12_GLOBAL__N_125multi_tensor_apply_kernelINS1_18TensorListMetadataILi1EEENS1_27BinaryOpScalarTensorFunctorIN3c108BFloat16ELi1ELi1ELi0EEEJSt7dividesIfEPS7_fEEEvT_T0_DpT1_,@function
_ZN2at6native12_GLOBAL__N_125multi_tensor_apply_kernelINS1_18TensorListMetadataILi1EEENS1_27BinaryOpScalarTensorFunctorIN3c108BFloat16ELi1ELi1ELi0EEEJSt7dividesIfEPS7_fEEEvT_T0_DpT1_: ; @_ZN2at6native12_GLOBAL__N_125multi_tensor_apply_kernelINS1_18TensorListMetadataILi1EEENS1_27BinaryOpScalarTensorFunctorIN3c108BFloat16ELi1ELi1ELi0EEEJSt7dividesIfEPS7_fEEEvT_T0_DpT1_
; %bb.0:
	v_mov_b32_e32 v1, s6
	global_load_ubyte v1, v1, s[4:5] offset:1760
	s_add_u32 s0, s4, s6
	s_mul_hi_u32 s1, s6, 3
	s_mul_i32 s6, s6, 3
	s_addc_u32 s2, s5, 0
	s_add_u32 s0, s0, s6
	s_addc_u32 s1, s2, s1
	s_load_dword s0, s[0:1], 0x820
	s_mov_b32 s7, 0
	s_load_dword s24, s[4:5], 0xd38
	s_waitcnt vmcnt(0)
	v_readfirstlane_b32 s1, v1
	s_lshl_b32 s1, s1, 3
	s_load_dwordx2 s[10:11], s[4:5], 0xd30
	s_load_dwordx2 s[2:3], s[4:5], s1 offset:0x370
	s_load_dwordx2 s[14:15], s[4:5], s1 offset:0x0
	s_waitcnt lgkmcnt(0)
	s_ashr_i32 s1, s0, 31
	s_lshl_b64 s[16:17], s[0:1], 17
	s_lshl_b64 s[0:1], s[0:1], 16
	s_and_b32 s6, s14, 7
	s_sub_u32 s12, s2, s0
	s_subb_u32 s13, s3, s1
	s_and_b32 s0, s2, 3
	s_mov_b32 s1, s7
	s_or_b64 s[0:1], s[6:7], s[0:1]
	s_cmp_eq_u64 s[0:1], 0
	s_cbranch_scc1 .LBB59_21
; %bb.1:
	v_cmp_lt_i64_e64 s[0:1], s[12:13], 1
	s_and_b64 vcc, exec, s[0:1]
	s_cbranch_vccnz .LBB59_20
; %bb.2:
	s_load_dword s0, s[4:5], 0xd4c
	v_mov_b32_e32 v2, 0x10000
	v_mov_b32_e32 v3, 0
	v_cmp_lt_u64_e32 vcc, s[12:13], v[2:3]
	v_lshlrev_b32_e32 v2, 1, v0
	s_waitcnt lgkmcnt(0)
	s_and_b32 s2, s0, 0xffff
	s_and_b64 s[0:1], vcc, exec
	s_cselect_b32 s19, s13, 0
	s_cselect_b32 s18, s12, 0x10000
	s_lshl_b32 s3, s2, 1
	s_lshl_b32 s26, s2, 2
	s_add_u32 s6, s14, s16
	s_addc_u32 s7, s15, s17
	v_mov_b32_e32 v3, s7
	v_add_co_u32_e32 v2, vcc, s6, v2
	s_mul_i32 s0, s2, 3
	v_addc_co_u32_e32 v3, vcc, 0, v3, vcc
	v_add_co_u32_e32 v6, vcc, s0, v0
	v_addc_co_u32_e64 v7, s[0:1], 0, 0, vcc
	v_add_co_u32_e32 v8, vcc, s3, v0
	v_addc_co_u32_e64 v9, s[0:1], 0, 0, vcc
	v_add_co_u32_e32 v10, vcc, s2, v0
	v_lshlrev_b32_e32 v4, 1, v10
	s_mov_b32 s25, 0
	v_addc_co_u32_e64 v11, s[0:1], 0, 0, vcc
	v_mov_b32_e32 v5, s7
	v_add_co_u32_e32 v4, vcc, s6, v4
	v_mov_b32_e32 v1, 0
	s_lshl_b32 s27, s2, 3
	s_mov_b32 s28, s25
	s_mul_i32 s29, s2, 6
	s_mov_b32 s30, s25
	v_addc_co_u32_e32 v5, vcc, 0, v5, vcc
	s_mov_b64 s[20:21], 0
	s_movk_i32 s31, 0x7fff
	v_mov_b32_e32 v12, 0x7fc0
	s_branch .LBB59_4
.LBB59_3:                               ;   in Loop: Header=BB59_4 Depth=1
	s_or_b64 exec, exec, s[2:3]
	s_add_u32 s20, s20, s26
	s_addc_u32 s21, s21, 0
	v_pk_mov_b32 v[14:15], s[12:13], s[12:13] op_sel:[0,1]
	v_cmp_lt_i64_e32 vcc, s[20:21], v[14:15]
	v_mov_b32_e32 v14, 0x10000
	v_mov_b32_e32 v15, 0
	v_cmp_lt_u64_e64 s[0:1], s[20:21], v[14:15]
	s_and_b64 s[0:1], vcc, s[0:1]
	v_mov_b32_e32 v13, s28
	v_add_co_u32_e32 v2, vcc, s27, v2
	v_addc_co_u32_e32 v3, vcc, v3, v13, vcc
	v_add_co_u32_e32 v4, vcc, s27, v4
	v_addc_co_u32_e32 v5, vcc, v5, v13, vcc
	s_and_b64 vcc, exec, s[0:1]
	s_cbranch_vccz .LBB59_20
.LBB59_4:                               ; =>This Inner Loop Header: Depth=1
	v_mov_b32_e32 v13, s21
	v_add_co_u32_e32 v14, vcc, s20, v0
	v_addc_co_u32_e32 v15, vcc, 0, v13, vcc
	v_cmp_gt_u64_e32 vcc, s[18:19], v[14:15]
	v_mov_b32_e32 v17, 0
	s_and_saveexec_b64 s[0:1], vcc
	s_cbranch_execz .LBB59_6
; %bb.5:                                ;   in Loop: Header=BB59_4 Depth=1
	global_load_ushort v17, v[2:3], off
.LBB59_6:                               ;   in Loop: Header=BB59_4 Depth=1
	s_or_b64 exec, exec, s[0:1]
	v_mov_b32_e32 v13, s21
	v_add_co_u32_e64 v14, s[0:1], s20, v10
	v_addc_co_u32_e64 v15, s[0:1], v11, v13, s[0:1]
	v_cmp_gt_u64_e64 s[6:7], s[18:19], v[14:15]
	v_mov_b32_e32 v13, 0
	v_mov_b32_e32 v16, 0
	s_and_saveexec_b64 s[0:1], s[6:7]
	s_cbranch_execz .LBB59_8
; %bb.7:                                ;   in Loop: Header=BB59_4 Depth=1
	global_load_ushort v16, v[4:5], off
.LBB59_8:                               ;   in Loop: Header=BB59_4 Depth=1
	s_or_b64 exec, exec, s[0:1]
	v_mov_b32_e32 v15, s21
	v_add_co_u32_e64 v14, s[0:1], s20, v8
	v_addc_co_u32_e64 v15, s[0:1], v9, v15, s[0:1]
	v_cmp_gt_u64_e64 s[2:3], s[18:19], v[14:15]
	s_and_saveexec_b64 s[8:9], s[2:3]
	s_cbranch_execz .LBB59_10
; %bb.9:                                ;   in Loop: Header=BB59_4 Depth=1
	v_mov_b32_e32 v13, s25
	v_add_co_u32_e64 v14, s[0:1], s26, v2
	v_addc_co_u32_e64 v15, s[0:1], v3, v13, s[0:1]
	global_load_ushort v13, v[14:15], off
.LBB59_10:                              ;   in Loop: Header=BB59_4 Depth=1
	s_or_b64 exec, exec, s[8:9]
	v_mov_b32_e32 v15, s21
	v_add_co_u32_e64 v14, s[0:1], s20, v6
	v_addc_co_u32_e64 v15, s[0:1], v7, v15, s[0:1]
	v_cmp_gt_u64_e64 s[0:1], s[18:19], v[14:15]
	v_mov_b32_e32 v15, 0
	s_and_saveexec_b64 s[22:23], s[0:1]
	s_cbranch_execz .LBB59_12
; %bb.11:                               ;   in Loop: Header=BB59_4 Depth=1
	v_mov_b32_e32 v15, s30
	v_add_co_u32_e64 v14, s[8:9], s29, v2
	v_addc_co_u32_e64 v15, s[8:9], v3, v15, s[8:9]
	global_load_ushort v15, v[14:15], off
.LBB59_12:                              ;   in Loop: Header=BB59_4 Depth=1
	s_or_b64 exec, exec, s[22:23]
	global_load_ushort v14, v1, s[10:11]
	s_waitcnt vmcnt(0)
	v_lshlrev_b32_e32 v14, 16, v14
	v_mul_f32_e32 v14, s24, v14
	s_and_saveexec_b64 s[8:9], vcc
	s_cbranch_execnz .LBB59_16
; %bb.13:                               ;   in Loop: Header=BB59_4 Depth=1
	s_or_b64 exec, exec, s[8:9]
	s_and_saveexec_b64 s[8:9], s[6:7]
	s_cbranch_execnz .LBB59_17
.LBB59_14:                              ;   in Loop: Header=BB59_4 Depth=1
	s_or_b64 exec, exec, s[8:9]
	s_and_saveexec_b64 s[6:7], s[2:3]
	s_cbranch_execnz .LBB59_18
.LBB59_15:                              ;   in Loop: Header=BB59_4 Depth=1
	s_or_b64 exec, exec, s[6:7]
	s_and_saveexec_b64 s[2:3], s[0:1]
	s_cbranch_execz .LBB59_3
	s_branch .LBB59_19
.LBB59_16:                              ;   in Loop: Header=BB59_4 Depth=1
	v_lshlrev_b32_e32 v17, 16, v17
	v_div_scale_f32 v18, s[22:23], v14, v14, v17
	v_rcp_f32_e32 v19, v18
	v_div_scale_f32 v20, vcc, v17, v14, v17
	v_fma_f32 v21, -v18, v19, 1.0
	v_fmac_f32_e32 v19, v21, v19
	v_mul_f32_e32 v21, v20, v19
	v_fma_f32 v22, -v18, v21, v20
	v_fmac_f32_e32 v21, v22, v19
	v_fma_f32 v18, -v18, v21, v20
	v_div_fmas_f32 v18, v18, v19, v21
	v_div_fixup_f32 v17, v18, v14, v17
	v_bfe_u32 v18, v17, 16, 1
	v_add3_u32 v18, v17, v18, s31
	v_lshrrev_b32_e32 v18, 16, v18
	v_cmp_o_f32_e32 vcc, v17, v17
	v_cndmask_b32_e32 v17, v12, v18, vcc
	global_store_short v[2:3], v17, off
	s_or_b64 exec, exec, s[8:9]
	s_and_saveexec_b64 s[8:9], s[6:7]
	s_cbranch_execz .LBB59_14
.LBB59_17:                              ;   in Loop: Header=BB59_4 Depth=1
	v_lshlrev_b32_e32 v16, 16, v16
	v_div_scale_f32 v17, s[6:7], v14, v14, v16
	v_rcp_f32_e32 v18, v17
	v_div_scale_f32 v19, vcc, v16, v14, v16
	v_fma_f32 v20, -v17, v18, 1.0
	v_fmac_f32_e32 v18, v20, v18
	v_mul_f32_e32 v20, v19, v18
	v_fma_f32 v21, -v17, v20, v19
	v_fmac_f32_e32 v20, v21, v18
	v_fma_f32 v17, -v17, v20, v19
	v_div_fmas_f32 v17, v17, v18, v20
	v_div_fixup_f32 v16, v17, v14, v16
	v_bfe_u32 v17, v16, 16, 1
	v_add3_u32 v17, v16, v17, s31
	v_lshrrev_b32_e32 v17, 16, v17
	v_cmp_o_f32_e32 vcc, v16, v16
	v_cndmask_b32_e32 v16, v12, v17, vcc
	global_store_short v[4:5], v16, off
	s_or_b64 exec, exec, s[8:9]
	s_and_saveexec_b64 s[6:7], s[2:3]
	s_cbranch_execz .LBB59_15
.LBB59_18:                              ;   in Loop: Header=BB59_4 Depth=1
	v_lshlrev_b32_e32 v13, 16, v13
	v_div_scale_f32 v16, s[2:3], v14, v14, v13
	v_rcp_f32_e32 v17, v16
	v_div_scale_f32 v18, vcc, v13, v14, v13
	v_fma_f32 v19, -v16, v17, 1.0
	v_fmac_f32_e32 v17, v19, v17
	v_mul_f32_e32 v19, v18, v17
	v_fma_f32 v20, -v16, v19, v18
	v_fmac_f32_e32 v19, v20, v17
	v_fma_f32 v16, -v16, v19, v18
	v_div_fmas_f32 v16, v16, v17, v19
	v_div_fixup_f32 v13, v16, v14, v13
	v_bfe_u32 v16, v13, 16, 1
	v_add3_u32 v16, v13, v16, s31
	v_lshrrev_b32_e32 v16, 16, v16
	v_cmp_o_f32_e32 vcc, v13, v13
	v_cndmask_b32_e32 v13, v12, v16, vcc
	v_mov_b32_e32 v17, s25
	v_add_co_u32_e32 v16, vcc, s26, v2
	v_addc_co_u32_e32 v17, vcc, v3, v17, vcc
	global_store_short v[16:17], v13, off
	s_or_b64 exec, exec, s[6:7]
	s_and_saveexec_b64 s[2:3], s[0:1]
	s_cbranch_execz .LBB59_3
.LBB59_19:                              ;   in Loop: Header=BB59_4 Depth=1
	v_lshlrev_b32_e32 v13, 16, v15
	v_div_scale_f32 v15, s[0:1], v14, v14, v13
	v_rcp_f32_e32 v16, v15
	v_div_scale_f32 v17, vcc, v13, v14, v13
	v_fma_f32 v18, -v15, v16, 1.0
	v_fmac_f32_e32 v16, v18, v16
	v_mul_f32_e32 v18, v17, v16
	v_fma_f32 v19, -v15, v18, v17
	v_fmac_f32_e32 v18, v19, v16
	v_fma_f32 v15, -v15, v18, v17
	v_div_fmas_f32 v15, v15, v16, v18
	v_div_fixup_f32 v13, v15, v14, v13
	v_bfe_u32 v14, v13, 16, 1
	v_add3_u32 v14, v13, v14, s31
	v_lshrrev_b32_e32 v14, 16, v14
	v_cmp_o_f32_e32 vcc, v13, v13
	v_cndmask_b32_e32 v13, v12, v14, vcc
	v_mov_b32_e32 v15, s30
	v_add_co_u32_e32 v14, vcc, s29, v2
	v_addc_co_u32_e32 v15, vcc, v3, v15, vcc
	global_store_short v[14:15], v13, off
	s_branch .LBB59_3
.LBB59_20:
	s_cbranch_execz .LBB59_22
	s_branch .LBB59_25
.LBB59_21:
.LBB59_22:
	v_mov_b32_e32 v3, 0
	v_lshlrev_b32_e32 v2, 2, v0
	s_mov_b32 s0, 0
	v_cmp_gt_i64_e32 vcc, s[12:13], v[2:3]
	s_and_saveexec_b64 s[2:3], vcc
	s_cbranch_execz .LBB59_25
; %bb.23:
	s_load_dword s1, s[4:5], 0xd4c
	v_lshlrev_b32_e32 v1, 3, v0
	s_mov_b64 s[6:7], 0
	v_mov_b32_e32 v6, 0x7fc00000
	v_mov_b32_e32 v7, 0x7fc0
	s_waitcnt lgkmcnt(0)
	s_and_b32 s1, s1, 0xffff
	s_add_u32 s2, s14, s16
	s_addc_u32 s3, s15, s17
	v_mov_b32_e32 v2, s3
	v_add_co_u32_e32 v4, vcc, s2, v1
	v_addc_co_u32_e32 v5, vcc, 0, v2, vcc
	v_add_lshl_u32 v2, v0, s1, 2
	s_lshl_b32 s14, s1, 3
	s_lshl_b32 s15, s1, 2
	s_movk_i32 s16, 0x7fff
	s_mov_b64 s[8:9], 0xffff
	v_mov_b32_e32 v8, s0
	v_mov_b32_e32 v9, s0
	v_pk_mov_b32 v[0:1], v[2:3], v[2:3] op_sel:[0,1]
.LBB59_24:                              ; =>This Inner Loop Header: Depth=1
	global_load_dwordx2 v[10:11], v[4:5], off
	global_load_ushort v2, v3, s[10:11]
	v_cmp_le_i64_e32 vcc, s[12:13], v[0:1]
	v_cmp_lt_u64_e64 s[0:1], s[8:9], v[0:1]
	s_or_b64 s[0:1], vcc, s[0:1]
	s_and_b64 s[0:1], exec, s[0:1]
	s_or_b64 s[6:7], s[0:1], s[6:7]
	s_waitcnt vmcnt(1)
	v_lshlrev_b32_e32 v13, 16, v10
	s_waitcnt vmcnt(0)
	v_lshlrev_b32_e32 v2, 16, v2
	v_mul_f32_e32 v2, s24, v2
	v_and_b32_e32 v12, 0xffff0000, v10
	v_alignbit_b32 v10, v11, v10, 16
	v_div_scale_f32 v14, s[0:1], v2, v2, v13
	v_and_b32_e32 v10, 0xffff0000, v10
	v_div_scale_f32 v16, s[0:1], v2, v2, v12
	v_rcp_f32_e32 v22, v14
	v_and_b32_e32 v11, 0xffff0000, v11
	v_div_scale_f32 v18, s[2:3], v2, v2, v10
	v_rcp_f32_e32 v23, v16
	v_div_scale_f32 v20, s[4:5], v2, v2, v11
	v_rcp_f32_e32 v24, v18
	v_rcp_f32_e32 v25, v20
	v_fma_f32 v26, -v14, v22, 1.0
	v_div_scale_f32 v15, vcc, v13, v2, v13
	v_fma_f32 v27, -v16, v23, 1.0
	v_fmac_f32_e32 v22, v26, v22
	v_div_scale_f32 v17, s[0:1], v12, v2, v12
	v_fma_f32 v28, -v18, v24, 1.0
	v_fmac_f32_e32 v23, v27, v23
	v_mul_f32_e32 v26, v15, v22
	v_div_scale_f32 v19, s[2:3], v10, v2, v10
	v_fma_f32 v29, -v20, v25, 1.0
	v_fmac_f32_e32 v24, v28, v24
	v_mul_f32_e32 v27, v17, v23
	v_fma_f32 v30, -v14, v26, v15
	v_div_scale_f32 v21, s[4:5], v11, v2, v11
	v_fmac_f32_e32 v25, v29, v25
	v_mul_f32_e32 v28, v19, v24
	v_fma_f32 v31, -v16, v27, v17
	v_fmac_f32_e32 v26, v30, v22
	v_mul_f32_e32 v29, v21, v25
	v_fma_f32 v32, -v18, v28, v19
	v_fmac_f32_e32 v27, v31, v23
	v_fma_f32 v14, -v14, v26, v15
	v_fma_f32 v33, -v20, v29, v21
	v_fmac_f32_e32 v28, v32, v24
	v_fma_f32 v15, -v16, v27, v17
	v_div_fmas_f32 v14, v14, v22, v26
	s_mov_b64 vcc, s[0:1]
	v_fmac_f32_e32 v29, v33, v25
	v_fma_f32 v16, -v18, v28, v19
	v_div_fixup_f32 v13, v14, v2, v13
	v_div_fmas_f32 v14, v15, v23, v27
	s_mov_b64 vcc, s[2:3]
	v_fma_f32 v17, -v20, v29, v21
	v_bfe_u32 v15, v13, 16, 1
	v_div_fixup_f32 v12, v14, v2, v12
	v_div_fmas_f32 v14, v16, v24, v28
	s_mov_b64 vcc, s[4:5]
	v_add3_u32 v15, v13, v15, s16
	v_bfe_u32 v16, v12, 16, 1
	v_div_fixup_f32 v10, v14, v2, v10
	v_div_fmas_f32 v14, v17, v25, v29
	v_lshrrev_b32_e32 v15, 16, v15
	v_add3_u32 v16, v12, v16, s16
	v_bfe_u32 v17, v10, 16, 1
	v_div_fixup_f32 v2, v14, v2, v11
	v_cmp_o_f32_e32 vcc, v13, v13
	v_and_b32_e32 v11, 0xffff0000, v16
	v_add3_u32 v14, v10, v17, s16
	v_bfe_u32 v16, v2, 16, 1
	v_cndmask_b32_e32 v13, v7, v15, vcc
	v_cmp_o_f32_e32 vcc, v12, v12
	v_lshrrev_b32_e32 v14, 16, v14
	v_add3_u32 v15, v2, v16, s16
	v_cndmask_b32_e32 v11, v6, v11, vcc
	v_cmp_o_f32_e32 vcc, v10, v10
	v_and_b32_e32 v12, 0xffff0000, v15
	v_cndmask_b32_e32 v14, v7, v14, vcc
	v_cmp_o_f32_e32 vcc, v2, v2
	v_or_b32_e32 v10, v13, v11
	v_cndmask_b32_e32 v2, v6, v12, vcc
	v_or3_b32 v10, v10, 0, 0
	v_or3_b32 v11, 0, v14, v2
	global_store_dwordx2 v[4:5], v[10:11], off
	v_add_co_u32_e32 v4, vcc, s14, v4
	v_addc_co_u32_e32 v5, vcc, v5, v8, vcc
	v_add_co_u32_e32 v0, vcc, s15, v0
	v_addc_co_u32_e32 v1, vcc, v1, v9, vcc
	s_andn2_b64 exec, exec, s[6:7]
	s_cbranch_execnz .LBB59_24
.LBB59_25:
	s_endpgm
	.section	.rodata,"a",@progbits
	.p2align	6, 0x0
	.amdhsa_kernel _ZN2at6native12_GLOBAL__N_125multi_tensor_apply_kernelINS1_18TensorListMetadataILi1EEENS1_27BinaryOpScalarTensorFunctorIN3c108BFloat16ELi1ELi1ELi0EEEJSt7dividesIfEPS7_fEEEvT_T0_DpT1_
		.amdhsa_group_segment_fixed_size 0
		.amdhsa_private_segment_fixed_size 0
		.amdhsa_kernarg_size 3648
		.amdhsa_user_sgpr_count 6
		.amdhsa_user_sgpr_private_segment_buffer 1
		.amdhsa_user_sgpr_dispatch_ptr 0
		.amdhsa_user_sgpr_queue_ptr 0
		.amdhsa_user_sgpr_kernarg_segment_ptr 1
		.amdhsa_user_sgpr_dispatch_id 0
		.amdhsa_user_sgpr_flat_scratch_init 0
		.amdhsa_user_sgpr_kernarg_preload_length 0
		.amdhsa_user_sgpr_kernarg_preload_offset 0
		.amdhsa_user_sgpr_private_segment_size 0
		.amdhsa_uses_dynamic_stack 0
		.amdhsa_system_sgpr_private_segment_wavefront_offset 0
		.amdhsa_system_sgpr_workgroup_id_x 1
		.amdhsa_system_sgpr_workgroup_id_y 0
		.amdhsa_system_sgpr_workgroup_id_z 0
		.amdhsa_system_sgpr_workgroup_info 0
		.amdhsa_system_vgpr_workitem_id 0
		.amdhsa_next_free_vgpr 34
		.amdhsa_next_free_sgpr 32
		.amdhsa_accum_offset 36
		.amdhsa_reserve_vcc 1
		.amdhsa_reserve_flat_scratch 0
		.amdhsa_float_round_mode_32 0
		.amdhsa_float_round_mode_16_64 0
		.amdhsa_float_denorm_mode_32 3
		.amdhsa_float_denorm_mode_16_64 3
		.amdhsa_dx10_clamp 1
		.amdhsa_ieee_mode 1
		.amdhsa_fp16_overflow 0
		.amdhsa_tg_split 0
		.amdhsa_exception_fp_ieee_invalid_op 0
		.amdhsa_exception_fp_denorm_src 0
		.amdhsa_exception_fp_ieee_div_zero 0
		.amdhsa_exception_fp_ieee_overflow 0
		.amdhsa_exception_fp_ieee_underflow 0
		.amdhsa_exception_fp_ieee_inexact 0
		.amdhsa_exception_int_div_zero 0
	.end_amdhsa_kernel
	.section	.text._ZN2at6native12_GLOBAL__N_125multi_tensor_apply_kernelINS1_18TensorListMetadataILi1EEENS1_27BinaryOpScalarTensorFunctorIN3c108BFloat16ELi1ELi1ELi0EEEJSt7dividesIfEPS7_fEEEvT_T0_DpT1_,"axG",@progbits,_ZN2at6native12_GLOBAL__N_125multi_tensor_apply_kernelINS1_18TensorListMetadataILi1EEENS1_27BinaryOpScalarTensorFunctorIN3c108BFloat16ELi1ELi1ELi0EEEJSt7dividesIfEPS7_fEEEvT_T0_DpT1_,comdat
.Lfunc_end59:
	.size	_ZN2at6native12_GLOBAL__N_125multi_tensor_apply_kernelINS1_18TensorListMetadataILi1EEENS1_27BinaryOpScalarTensorFunctorIN3c108BFloat16ELi1ELi1ELi0EEEJSt7dividesIfEPS7_fEEEvT_T0_DpT1_, .Lfunc_end59-_ZN2at6native12_GLOBAL__N_125multi_tensor_apply_kernelINS1_18TensorListMetadataILi1EEENS1_27BinaryOpScalarTensorFunctorIN3c108BFloat16ELi1ELi1ELi0EEEJSt7dividesIfEPS7_fEEEvT_T0_DpT1_
                                        ; -- End function
	.section	.AMDGPU.csdata,"",@progbits
; Kernel info:
; codeLenInByte = 1940
; NumSgprs: 36
; NumVgprs: 34
; NumAgprs: 0
; TotalNumVgprs: 34
; ScratchSize: 0
; MemoryBound: 0
; FloatMode: 240
; IeeeMode: 1
; LDSByteSize: 0 bytes/workgroup (compile time only)
; SGPRBlocks: 4
; VGPRBlocks: 4
; NumSGPRsForWavesPerEU: 36
; NumVGPRsForWavesPerEU: 34
; AccumOffset: 36
; Occupancy: 8
; WaveLimiterHint : 0
; COMPUTE_PGM_RSRC2:SCRATCH_EN: 0
; COMPUTE_PGM_RSRC2:USER_SGPR: 6
; COMPUTE_PGM_RSRC2:TRAP_HANDLER: 0
; COMPUTE_PGM_RSRC2:TGID_X_EN: 1
; COMPUTE_PGM_RSRC2:TGID_Y_EN: 0
; COMPUTE_PGM_RSRC2:TGID_Z_EN: 0
; COMPUTE_PGM_RSRC2:TIDIG_COMP_CNT: 0
; COMPUTE_PGM_RSRC3_GFX90A:ACCUM_OFFSET: 8
; COMPUTE_PGM_RSRC3_GFX90A:TG_SPLIT: 0
	.section	.text._ZN2at6native12_GLOBAL__N_125multi_tensor_apply_kernelINS1_18TensorListMetadataILi2EEENS1_27BinaryOpScalarTensorFunctorIhLi2ELi1ELi1EEEJSt7dividesIhEPhhEEEvT_T0_DpT1_,"axG",@progbits,_ZN2at6native12_GLOBAL__N_125multi_tensor_apply_kernelINS1_18TensorListMetadataILi2EEENS1_27BinaryOpScalarTensorFunctorIhLi2ELi1ELi1EEEJSt7dividesIhEPhhEEEvT_T0_DpT1_,comdat
	.globl	_ZN2at6native12_GLOBAL__N_125multi_tensor_apply_kernelINS1_18TensorListMetadataILi2EEENS1_27BinaryOpScalarTensorFunctorIhLi2ELi1ELi1EEEJSt7dividesIhEPhhEEEvT_T0_DpT1_ ; -- Begin function _ZN2at6native12_GLOBAL__N_125multi_tensor_apply_kernelINS1_18TensorListMetadataILi2EEENS1_27BinaryOpScalarTensorFunctorIhLi2ELi1ELi1EEEJSt7dividesIhEPhhEEEvT_T0_DpT1_
	.p2align	8
	.type	_ZN2at6native12_GLOBAL__N_125multi_tensor_apply_kernelINS1_18TensorListMetadataILi2EEENS1_27BinaryOpScalarTensorFunctorIhLi2ELi1ELi1EEEJSt7dividesIhEPhhEEEvT_T0_DpT1_,@function
_ZN2at6native12_GLOBAL__N_125multi_tensor_apply_kernelINS1_18TensorListMetadataILi2EEENS1_27BinaryOpScalarTensorFunctorIhLi2ELi1ELi1EEEJSt7dividesIhEPhhEEEvT_T0_DpT1_: ; @_ZN2at6native12_GLOBAL__N_125multi_tensor_apply_kernelINS1_18TensorListMetadataILi2EEENS1_27BinaryOpScalarTensorFunctorIhLi2ELi1ELi1EEEJSt7dividesIhEPhhEEEvT_T0_DpT1_
; %bb.0:
	v_mov_b32_e32 v1, s6
	global_load_ubyte v1, v1, s[4:5] offset:1536
	s_add_u32 s0, s4, s6
	s_mul_hi_u32 s1, s6, 3
	s_mul_i32 s6, s6, 3
	s_addc_u32 s2, s5, 0
	s_add_u32 s0, s0, s6
	s_addc_u32 s1, s2, s1
	s_load_dword s0, s[0:1], 0x740
	s_waitcnt vmcnt(0)
	v_readfirstlane_b32 s1, v1
	s_load_dword s26, s[4:5], 0xc58
	s_lshl_b32 s1, s1, 3
	s_load_dwordx2 s[12:13], s[4:5], s1 offset:0x0
	s_load_dwordx2 s[8:9], s[4:5], 0xc50
	s_load_dwordx2 s[6:7], s[4:5], s1 offset:0x400
	s_load_dwordx2 s[14:15], s[4:5], s1 offset:0x200
	s_waitcnt lgkmcnt(0)
	s_ashr_i32 s1, s0, 31
	s_lshl_b64 s[18:19], s[0:1], 16
	s_add_u32 s10, s12, s18
	s_addc_u32 s11, s13, s19
	s_add_u32 s27, s14, s18
	s_addc_u32 s2, s15, s19
	s_or_b64 s[0:1], s[6:7], s[10:11]
	s_or_b32 s0, s27, s0
	s_and_b32 s0, s0, 3
	s_sub_u32 s16, s6, s18
	s_subb_u32 s17, s7, s19
	s_cmp_eq_u32 s0, 0
	s_mov_b64 s[0:1], -1
	s_cbranch_scc0 .LBB60_5
; %bb.1:
	v_lshlrev_b32_e32 v2, 2, v0
	v_mov_b32_e32 v3, 0
	v_cmp_gt_i64_e32 vcc, s[16:17], v[2:3]
	s_and_saveexec_b64 s[20:21], vcc
	s_cbranch_execz .LBB60_4
; %bb.2:
	s_load_dword s0, s[4:5], 0xc6c
	s_mov_b32 s1, 0
	s_and_b32 s28, s26, 0xff
	s_mov_b64 s[22:23], 0
	v_mov_b32_e32 v1, s11
	s_waitcnt lgkmcnt(0)
	s_and_b32 s0, s0, 0xffff
	s_lshl_b32 s11, s0, 2
	v_mov_b32_e32 v6, s2
	v_mov_b32_e32 v7, s1
	s_mov_b64 s[24:25], 0xffff
	v_mov_b32_e32 v8, 8
	v_pk_mov_b32 v[4:5], v[2:3], v[2:3] op_sel:[0,1]
.LBB60_3:                               ; =>This Inner Loop Header: Depth=1
	v_add_co_u32_e32 v10, vcc, s10, v4
	v_addc_co_u32_e32 v11, vcc, v1, v5, vcc
	global_load_ubyte v2, v3, s[8:9]
	global_load_dword v9, v[10:11], off
	v_add_co_u32_e32 v10, vcc, s27, v4
	v_addc_co_u32_e32 v11, vcc, v6, v5, vcc
	v_add_co_u32_e32 v4, vcc, s11, v4
	v_addc_co_u32_e32 v5, vcc, v7, v5, vcc
	v_cmp_le_i64_e32 vcc, s[16:17], v[4:5]
	v_cmp_lt_u64_e64 s[0:1], s[24:25], v[4:5]
	s_or_b64 s[0:1], vcc, s[0:1]
	s_and_b64 s[0:1], exec, s[0:1]
	s_or_b64 s[22:23], s[0:1], s[22:23]
	s_waitcnt vmcnt(1)
	v_mul_lo_u32 v2, v2, s28
	v_cvt_f32_ubyte0_e32 v2, v2
	v_rcp_iflag_f32_e32 v15, v2
	s_waitcnt vmcnt(0)
	v_cvt_f32_ubyte1_e32 v13, v9
	v_cvt_f32_ubyte2_e32 v14, v9
	v_cvt_f32_ubyte0_e32 v12, v9
	v_mul_f32_e32 v17, v13, v15
	v_mul_f32_e32 v18, v14, v15
	v_cvt_f32_ubyte3_e32 v9, v9
	v_trunc_f32_e32 v17, v17
	v_trunc_f32_e32 v18, v18
	v_mul_f32_e32 v16, v12, v15
	v_mul_f32_e32 v15, v9, v15
	v_mad_f32 v13, -v17, v2, v13
	v_cvt_u32_f32_e32 v17, v17
	v_mad_f32 v14, -v18, v2, v14
	v_cvt_u32_f32_e32 v18, v18
	v_trunc_f32_e32 v16, v16
	v_trunc_f32_e32 v15, v15
	v_mad_f32 v12, -v16, v2, v12
	v_cvt_u32_f32_e32 v16, v16
	v_mad_f32 v9, -v15, v2, v9
	v_cvt_u32_f32_e32 v15, v15
	v_cmp_ge_f32_e64 vcc, |v13|, v2
	v_cmp_ge_f32_e64 s[0:1], |v14|, v2
	v_cmp_ge_f32_e64 s[2:3], |v9|, v2
	v_cmp_ge_f32_e64 s[6:7], |v12|, v2
	v_addc_co_u32_e32 v9, vcc, 0, v17, vcc
	v_addc_co_u32_e64 v12, vcc, 0, v18, s[0:1]
	v_and_b32_e32 v12, 0xff, v12
	v_addc_co_u32_e64 v2, s[6:7], 0, v16, s[6:7]
	v_addc_co_u32_e64 v13, vcc, 0, v15, s[2:3]
	v_lshlrev_b32_e32 v12, 16, v12
	v_lshlrev_b32_sdwa v9, v8, v9 dst_sel:DWORD dst_unused:UNUSED_PAD src0_sel:DWORD src1_sel:BYTE_0
	v_and_b32_e32 v2, 0xff, v2
	v_lshl_or_b32 v12, v13, 24, v12
	v_or3_b32 v2, v12, v9, v2
	global_store_dword v[10:11], v2, off
	s_andn2_b64 exec, exec, s[22:23]
	s_cbranch_execnz .LBB60_3
.LBB60_4:
	s_or_b64 exec, exec, s[20:21]
	s_mov_b64 s[0:1], 0
.LBB60_5:
	s_andn2_b64 vcc, exec, s[0:1]
	s_cbranch_vccnz .LBB60_25
; %bb.6:
	v_cmp_lt_i64_e64 s[0:1], s[16:17], 1
	s_and_b64 vcc, exec, s[0:1]
	s_cbranch_vccnz .LBB60_25
; %bb.7:
	s_load_dword s0, s[4:5], 0xc6c
	v_mov_b32_e32 v2, 0x10000
	v_mov_b32_e32 v3, 0
	v_cmp_lt_u64_e32 vcc, s[16:17], v[2:3]
	v_mov_b32_e32 v2, s19
	s_waitcnt lgkmcnt(0)
	s_and_b32 s2, s0, 0xffff
	s_and_b64 s[0:1], vcc, exec
	v_add_co_u32_e32 v3, vcc, s18, v0
	v_addc_co_u32_e32 v2, vcc, 0, v2, vcc
	v_mov_b32_e32 v21, s13
	v_add_co_u32_e32 v4, vcc, s12, v3
	s_cselect_b32 s11, s17, 0
	s_cselect_b32 s10, s16, 0x10000
	s_lshl_b32 s3, s2, 1
	s_mul_i32 s0, s2, 3
	s_lshl_b32 s20, s2, 2
	s_and_b32 s21, s26, 0xff
	v_addc_co_u32_e32 v5, vcc, v21, v2, vcc
	v_mov_b32_e32 v23, s15
	v_add_co_u32_e32 v6, vcc, s14, v3
	s_add_u32 s1, s18, s0
	v_addc_co_u32_e32 v7, vcc, v23, v2, vcc
	s_addc_u32 s4, s19, 0
	v_mov_b32_e32 v8, s4
	v_add_co_u32_e32 v10, vcc, s1, v0
	v_addc_co_u32_e32 v11, vcc, 0, v8, vcc
	v_add_co_u32_e32 v8, vcc, s12, v10
	v_addc_co_u32_e32 v9, vcc, v21, v11, vcc
	;; [unrolled: 2-line block ×3, first 2 shown]
	v_add_co_u32_e32 v12, vcc, s0, v0
	v_addc_co_u32_e64 v13, s[0:1], 0, 0, vcc
	s_add_u32 s0, s18, s3
	s_addc_u32 s1, s19, 0
	v_mov_b32_e32 v14, s1
	v_add_co_u32_e32 v16, vcc, s0, v0
	v_addc_co_u32_e32 v17, vcc, 0, v14, vcc
	v_add_co_u32_e32 v14, vcc, s12, v16
	v_addc_co_u32_e32 v15, vcc, v21, v17, vcc
	;; [unrolled: 2-line block ×3, first 2 shown]
	v_add_co_u32_e32 v18, vcc, s3, v0
	v_addc_co_u32_e64 v19, s[0:1], 0, 0, vcc
	v_add_co_u32_e32 v3, vcc, s2, v3
	v_addc_co_u32_e32 v2, vcc, 0, v2, vcc
	v_add_co_u32_e32 v20, vcc, s12, v3
	v_addc_co_u32_e32 v21, vcc, v21, v2, vcc
	v_add_co_u32_e32 v22, vcc, s14, v3
	v_addc_co_u32_e32 v23, vcc, v23, v2, vcc
	v_add_co_u32_e32 v24, vcc, s2, v0
	v_mov_b32_e32 v1, 0
	v_addc_co_u32_e64 v25, s[0:1], 0, 0, vcc
	s_mov_b64 s[12:13], 0
	v_pk_mov_b32 v[2:3], s[16:17], s[16:17] op_sel:[0,1]
	s_branch .LBB60_9
.LBB60_8:                               ;   in Loop: Header=BB60_9 Depth=1
	s_or_b64 exec, exec, s[0:1]
	s_add_u32 s12, s12, s20
	v_mov_b32_e32 v26, 0xffff
	s_addc_u32 s13, s13, 0
	v_mov_b32_e32 v27, 0
	v_cmp_ge_i64_e32 vcc, s[12:13], v[2:3]
	v_cmp_gt_u64_e64 s[0:1], s[12:13], v[26:27]
	s_or_b64 s[0:1], vcc, s[0:1]
	s_and_b64 vcc, exec, s[0:1]
	s_cbranch_vccnz .LBB60_25
.LBB60_9:                               ; =>This Inner Loop Header: Depth=1
	v_mov_b32_e32 v27, s13
	v_add_co_u32_e32 v26, vcc, s12, v0
	v_addc_co_u32_e32 v27, vcc, 0, v27, vcc
	v_cmp_gt_u64_e32 vcc, s[10:11], v[26:27]
	v_mov_b32_e32 v27, 0
	s_and_saveexec_b64 s[2:3], vcc
	s_cbranch_execz .LBB60_11
; %bb.10:                               ;   in Loop: Header=BB60_9 Depth=1
	v_mov_b32_e32 v27, s13
	v_add_co_u32_e64 v26, s[0:1], s12, v4
	v_addc_co_u32_e64 v27, s[0:1], v5, v27, s[0:1]
	global_load_ubyte v27, v[26:27], off
.LBB60_11:                              ;   in Loop: Header=BB60_9 Depth=1
	s_or_b64 exec, exec, s[2:3]
	v_mov_b32_e32 v26, s13
	v_add_co_u32_e64 v28, s[0:1], s12, v24
	v_addc_co_u32_e64 v29, s[0:1], v25, v26, s[0:1]
	v_cmp_gt_u64_e64 s[0:1], s[10:11], v[28:29]
	v_mov_b32_e32 v26, 0
	v_mov_b32_e32 v28, 0
	s_and_saveexec_b64 s[4:5], s[0:1]
	s_cbranch_execz .LBB60_13
; %bb.12:                               ;   in Loop: Header=BB60_9 Depth=1
	v_mov_b32_e32 v29, s13
	v_add_co_u32_e64 v28, s[2:3], s12, v20
	v_addc_co_u32_e64 v29, s[2:3], v21, v29, s[2:3]
	global_load_ubyte v28, v[28:29], off
.LBB60_13:                              ;   in Loop: Header=BB60_9 Depth=1
	s_or_b64 exec, exec, s[4:5]
	v_mov_b32_e32 v29, s13
	v_add_co_u32_e64 v30, s[2:3], s12, v18
	v_addc_co_u32_e64 v31, s[2:3], v19, v29, s[2:3]
	v_cmp_gt_u64_e64 s[2:3], s[10:11], v[30:31]
	s_and_saveexec_b64 s[6:7], s[2:3]
	s_cbranch_execz .LBB60_15
; %bb.14:                               ;   in Loop: Header=BB60_9 Depth=1
	v_mov_b32_e32 v26, s13
	v_add_co_u32_e64 v30, s[4:5], s12, v14
	v_addc_co_u32_e64 v31, s[4:5], v15, v26, s[4:5]
	global_load_ubyte v26, v[30:31], off
.LBB60_15:                              ;   in Loop: Header=BB60_9 Depth=1
	s_or_b64 exec, exec, s[6:7]
	v_mov_b32_e32 v29, s13
	v_add_co_u32_e64 v30, s[4:5], s12, v12
	v_addc_co_u32_e64 v31, s[4:5], v13, v29, s[4:5]
	v_cmp_gt_u64_e64 s[4:5], s[10:11], v[30:31]
	v_mov_b32_e32 v29, 0
	s_and_saveexec_b64 s[14:15], s[4:5]
	s_cbranch_execz .LBB60_17
; %bb.16:                               ;   in Loop: Header=BB60_9 Depth=1
	v_mov_b32_e32 v29, s13
	v_add_co_u32_e64 v30, s[6:7], s12, v8
	v_addc_co_u32_e64 v31, s[6:7], v9, v29, s[6:7]
	global_load_ubyte v29, v[30:31], off
.LBB60_17:                              ;   in Loop: Header=BB60_9 Depth=1
	s_or_b64 exec, exec, s[14:15]
	global_load_ubyte v30, v1, s[8:9]
	s_waitcnt vmcnt(0)
	v_mul_lo_u32 v30, v30, s21
	v_cvt_f32_ubyte0_e32 v30, v30
	v_rcp_iflag_f32_e32 v31, v30
	s_and_saveexec_b64 s[6:7], vcc
	s_cbranch_execnz .LBB60_21
; %bb.18:                               ;   in Loop: Header=BB60_9 Depth=1
	s_or_b64 exec, exec, s[6:7]
	s_and_saveexec_b64 s[6:7], s[0:1]
	s_cbranch_execnz .LBB60_22
.LBB60_19:                              ;   in Loop: Header=BB60_9 Depth=1
	s_or_b64 exec, exec, s[6:7]
	s_and_saveexec_b64 s[0:1], s[2:3]
	s_cbranch_execnz .LBB60_23
.LBB60_20:                              ;   in Loop: Header=BB60_9 Depth=1
	s_or_b64 exec, exec, s[0:1]
	s_and_saveexec_b64 s[0:1], s[4:5]
	s_cbranch_execz .LBB60_8
	s_branch .LBB60_24
.LBB60_21:                              ;   in Loop: Header=BB60_9 Depth=1
	v_cvt_f32_ubyte0_e32 v27, v27
	v_mul_f32_e32 v34, v27, v31
	v_trunc_f32_e32 v34, v34
	v_cvt_u32_f32_e32 v35, v34
	v_mov_b32_e32 v33, s13
	v_add_co_u32_e32 v32, vcc, s12, v6
	v_addc_co_u32_e32 v33, vcc, v7, v33, vcc
	v_mad_f32 v27, -v34, v30, v27
	v_cmp_ge_f32_e64 vcc, |v27|, v30
	v_addc_co_u32_e32 v27, vcc, 0, v35, vcc
	global_store_byte v[32:33], v27, off
	s_or_b64 exec, exec, s[6:7]
	s_and_saveexec_b64 s[6:7], s[0:1]
	s_cbranch_execz .LBB60_19
.LBB60_22:                              ;   in Loop: Header=BB60_9 Depth=1
	v_cvt_f32_ubyte0_e32 v27, v28
	v_mul_f32_e32 v28, v27, v31
	v_trunc_f32_e32 v28, v28
	v_cvt_u32_f32_e32 v32, v28
	v_mad_f32 v27, -v28, v30, v27
	v_cmp_ge_f32_e64 vcc, |v27|, v30
	v_mov_b32_e32 v28, s13
	v_addc_co_u32_e32 v27, vcc, 0, v32, vcc
	v_add_co_u32_e32 v32, vcc, s12, v22
	v_addc_co_u32_e32 v33, vcc, v23, v28, vcc
	global_store_byte v[32:33], v27, off
	s_or_b64 exec, exec, s[6:7]
	s_and_saveexec_b64 s[0:1], s[2:3]
	s_cbranch_execz .LBB60_20
.LBB60_23:                              ;   in Loop: Header=BB60_9 Depth=1
	v_cvt_f32_ubyte0_e32 v26, v26
	v_mul_f32_e32 v27, v26, v31
	v_trunc_f32_e32 v27, v27
	v_cvt_u32_f32_e32 v28, v27
	v_mad_f32 v26, -v27, v30, v26
	v_cmp_ge_f32_e64 vcc, |v26|, v30
	v_mov_b32_e32 v27, s13
	v_addc_co_u32_e32 v28, vcc, 0, v28, vcc
	v_add_co_u32_e32 v26, vcc, s12, v16
	v_addc_co_u32_e32 v27, vcc, v17, v27, vcc
	global_store_byte v[26:27], v28, off
	s_or_b64 exec, exec, s[0:1]
	s_and_saveexec_b64 s[0:1], s[4:5]
	s_cbranch_execz .LBB60_8
.LBB60_24:                              ;   in Loop: Header=BB60_9 Depth=1
	v_cvt_f32_ubyte0_e32 v26, v29
	v_mul_f32_e32 v27, v26, v31
	v_trunc_f32_e32 v27, v27
	v_cvt_u32_f32_e32 v28, v27
	v_mad_f32 v26, -v27, v30, v26
	v_cmp_ge_f32_e64 vcc, |v26|, v30
	v_mov_b32_e32 v27, s13
	v_addc_co_u32_e32 v28, vcc, 0, v28, vcc
	v_add_co_u32_e32 v26, vcc, s12, v10
	v_addc_co_u32_e32 v27, vcc, v11, v27, vcc
	global_store_byte v[26:27], v28, off
	s_branch .LBB60_8
.LBB60_25:
	s_endpgm
	.section	.rodata,"a",@progbits
	.p2align	6, 0x0
	.amdhsa_kernel _ZN2at6native12_GLOBAL__N_125multi_tensor_apply_kernelINS1_18TensorListMetadataILi2EEENS1_27BinaryOpScalarTensorFunctorIhLi2ELi1ELi1EEEJSt7dividesIhEPhhEEEvT_T0_DpT1_
		.amdhsa_group_segment_fixed_size 0
		.amdhsa_private_segment_fixed_size 0
		.amdhsa_kernarg_size 3424
		.amdhsa_user_sgpr_count 6
		.amdhsa_user_sgpr_private_segment_buffer 1
		.amdhsa_user_sgpr_dispatch_ptr 0
		.amdhsa_user_sgpr_queue_ptr 0
		.amdhsa_user_sgpr_kernarg_segment_ptr 1
		.amdhsa_user_sgpr_dispatch_id 0
		.amdhsa_user_sgpr_flat_scratch_init 0
		.amdhsa_user_sgpr_kernarg_preload_length 0
		.amdhsa_user_sgpr_kernarg_preload_offset 0
		.amdhsa_user_sgpr_private_segment_size 0
		.amdhsa_uses_dynamic_stack 0
		.amdhsa_system_sgpr_private_segment_wavefront_offset 0
		.amdhsa_system_sgpr_workgroup_id_x 1
		.amdhsa_system_sgpr_workgroup_id_y 0
		.amdhsa_system_sgpr_workgroup_id_z 0
		.amdhsa_system_sgpr_workgroup_info 0
		.amdhsa_system_vgpr_workitem_id 0
		.amdhsa_next_free_vgpr 36
		.amdhsa_next_free_sgpr 29
		.amdhsa_accum_offset 36
		.amdhsa_reserve_vcc 1
		.amdhsa_reserve_flat_scratch 0
		.amdhsa_float_round_mode_32 0
		.amdhsa_float_round_mode_16_64 0
		.amdhsa_float_denorm_mode_32 3
		.amdhsa_float_denorm_mode_16_64 3
		.amdhsa_dx10_clamp 1
		.amdhsa_ieee_mode 1
		.amdhsa_fp16_overflow 0
		.amdhsa_tg_split 0
		.amdhsa_exception_fp_ieee_invalid_op 0
		.amdhsa_exception_fp_denorm_src 0
		.amdhsa_exception_fp_ieee_div_zero 0
		.amdhsa_exception_fp_ieee_overflow 0
		.amdhsa_exception_fp_ieee_underflow 0
		.amdhsa_exception_fp_ieee_inexact 0
		.amdhsa_exception_int_div_zero 0
	.end_amdhsa_kernel
	.section	.text._ZN2at6native12_GLOBAL__N_125multi_tensor_apply_kernelINS1_18TensorListMetadataILi2EEENS1_27BinaryOpScalarTensorFunctorIhLi2ELi1ELi1EEEJSt7dividesIhEPhhEEEvT_T0_DpT1_,"axG",@progbits,_ZN2at6native12_GLOBAL__N_125multi_tensor_apply_kernelINS1_18TensorListMetadataILi2EEENS1_27BinaryOpScalarTensorFunctorIhLi2ELi1ELi1EEEJSt7dividesIhEPhhEEEvT_T0_DpT1_,comdat
.Lfunc_end60:
	.size	_ZN2at6native12_GLOBAL__N_125multi_tensor_apply_kernelINS1_18TensorListMetadataILi2EEENS1_27BinaryOpScalarTensorFunctorIhLi2ELi1ELi1EEEJSt7dividesIhEPhhEEEvT_T0_DpT1_, .Lfunc_end60-_ZN2at6native12_GLOBAL__N_125multi_tensor_apply_kernelINS1_18TensorListMetadataILi2EEENS1_27BinaryOpScalarTensorFunctorIhLi2ELi1ELi1EEEJSt7dividesIhEPhhEEEvT_T0_DpT1_
                                        ; -- End function
	.section	.AMDGPU.csdata,"",@progbits
; Kernel info:
; codeLenInByte = 1512
; NumSgprs: 33
; NumVgprs: 36
; NumAgprs: 0
; TotalNumVgprs: 36
; ScratchSize: 0
; MemoryBound: 0
; FloatMode: 240
; IeeeMode: 1
; LDSByteSize: 0 bytes/workgroup (compile time only)
; SGPRBlocks: 4
; VGPRBlocks: 4
; NumSGPRsForWavesPerEU: 33
; NumVGPRsForWavesPerEU: 36
; AccumOffset: 36
; Occupancy: 8
; WaveLimiterHint : 0
; COMPUTE_PGM_RSRC2:SCRATCH_EN: 0
; COMPUTE_PGM_RSRC2:USER_SGPR: 6
; COMPUTE_PGM_RSRC2:TRAP_HANDLER: 0
; COMPUTE_PGM_RSRC2:TGID_X_EN: 1
; COMPUTE_PGM_RSRC2:TGID_Y_EN: 0
; COMPUTE_PGM_RSRC2:TGID_Z_EN: 0
; COMPUTE_PGM_RSRC2:TIDIG_COMP_CNT: 0
; COMPUTE_PGM_RSRC3_GFX90A:ACCUM_OFFSET: 8
; COMPUTE_PGM_RSRC3_GFX90A:TG_SPLIT: 0
	.section	.text._ZN2at6native12_GLOBAL__N_125multi_tensor_apply_kernelINS1_18TensorListMetadataILi2EEENS1_27BinaryOpScalarTensorFunctorIaLi2ELi1ELi1EEEJSt7dividesIaEPaaEEEvT_T0_DpT1_,"axG",@progbits,_ZN2at6native12_GLOBAL__N_125multi_tensor_apply_kernelINS1_18TensorListMetadataILi2EEENS1_27BinaryOpScalarTensorFunctorIaLi2ELi1ELi1EEEJSt7dividesIaEPaaEEEvT_T0_DpT1_,comdat
	.globl	_ZN2at6native12_GLOBAL__N_125multi_tensor_apply_kernelINS1_18TensorListMetadataILi2EEENS1_27BinaryOpScalarTensorFunctorIaLi2ELi1ELi1EEEJSt7dividesIaEPaaEEEvT_T0_DpT1_ ; -- Begin function _ZN2at6native12_GLOBAL__N_125multi_tensor_apply_kernelINS1_18TensorListMetadataILi2EEENS1_27BinaryOpScalarTensorFunctorIaLi2ELi1ELi1EEEJSt7dividesIaEPaaEEEvT_T0_DpT1_
	.p2align	8
	.type	_ZN2at6native12_GLOBAL__N_125multi_tensor_apply_kernelINS1_18TensorListMetadataILi2EEENS1_27BinaryOpScalarTensorFunctorIaLi2ELi1ELi1EEEJSt7dividesIaEPaaEEEvT_T0_DpT1_,@function
_ZN2at6native12_GLOBAL__N_125multi_tensor_apply_kernelINS1_18TensorListMetadataILi2EEENS1_27BinaryOpScalarTensorFunctorIaLi2ELi1ELi1EEEJSt7dividesIaEPaaEEEvT_T0_DpT1_: ; @_ZN2at6native12_GLOBAL__N_125multi_tensor_apply_kernelINS1_18TensorListMetadataILi2EEENS1_27BinaryOpScalarTensorFunctorIaLi2ELi1ELi1EEEJSt7dividesIaEPaaEEEvT_T0_DpT1_
; %bb.0:
	v_mov_b32_e32 v1, s6
	global_load_ubyte v1, v1, s[4:5] offset:1536
	s_add_u32 s0, s4, s6
	s_mul_hi_u32 s1, s6, 3
	s_mul_i32 s6, s6, 3
	s_addc_u32 s2, s5, 0
	s_add_u32 s0, s0, s6
	s_addc_u32 s1, s2, s1
	s_load_dword s0, s[0:1], 0x740
	s_waitcnt vmcnt(0)
	v_readfirstlane_b32 s1, v1
	s_load_dword s22, s[4:5], 0xc58
	s_lshl_b32 s1, s1, 3
	s_load_dwordx2 s[2:3], s[4:5], s1 offset:0x0
	s_load_dwordx2 s[8:9], s[4:5], 0xc50
	s_load_dwordx2 s[12:13], s[4:5], s1 offset:0x400
	s_load_dwordx2 s[6:7], s[4:5], s1 offset:0x200
	s_waitcnt lgkmcnt(0)
	s_ashr_i32 s1, s0, 31
	s_lshl_b64 s[14:15], s[0:1], 16
	s_add_u32 s10, s2, s14
	s_addc_u32 s11, s3, s15
	s_add_u32 s23, s6, s14
	s_addc_u32 s20, s7, s15
	s_or_b64 s[0:1], s[12:13], s[10:11]
	s_or_b32 s0, s23, s0
	s_and_b32 s0, s0, 3
	s_sub_u32 s12, s12, s14
	s_subb_u32 s13, s13, s15
	s_cmp_eq_u32 s0, 0
	s_mov_b64 s[0:1], -1
	s_cbranch_scc0 .LBB61_5
; %bb.1:
	v_lshlrev_b32_e32 v2, 2, v0
	v_mov_b32_e32 v3, 0
	v_cmp_gt_i64_e32 vcc, s[12:13], v[2:3]
	s_and_saveexec_b64 s[16:17], vcc
	s_cbranch_execz .LBB61_4
; %bb.2:
	s_load_dword s0, s[4:5], 0xc6c
	s_mov_b32 s1, 0
	s_and_b32 s24, s22, 0xff
	s_mov_b64 s[18:19], 0
	v_mov_b32_e32 v1, s11
	s_waitcnt lgkmcnt(0)
	s_and_b32 s0, s0, 0xffff
	s_lshl_b32 s11, s0, 2
	v_mov_b32_e32 v6, s20
	v_mov_b32_e32 v7, s1
	s_mov_b64 s[20:21], 0xffff
	v_pk_mov_b32 v[4:5], v[2:3], v[2:3] op_sel:[0,1]
.LBB61_3:                               ; =>This Inner Loop Header: Depth=1
	v_add_co_u32_e32 v8, vcc, s10, v4
	v_addc_co_u32_e32 v9, vcc, v1, v5, vcc
	global_load_ubyte v2, v3, s[8:9]
	global_load_dword v10, v[8:9], off
	v_add_co_u32_e32 v8, vcc, s23, v4
	v_addc_co_u32_e32 v9, vcc, v6, v5, vcc
	v_add_co_u32_e32 v4, vcc, s11, v4
	v_addc_co_u32_e32 v5, vcc, v7, v5, vcc
	v_cmp_le_i64_e32 vcc, s[12:13], v[4:5]
	v_cmp_lt_u64_e64 s[0:1], s[20:21], v[4:5]
	s_or_b64 s[0:1], vcc, s[0:1]
	s_and_b64 s[0:1], exec, s[0:1]
	s_or_b64 s[18:19], s[0:1], s[18:19]
	s_waitcnt vmcnt(1)
	v_mul_lo_u32 v2, v2, s24
	v_cvt_f32_i32_sdwa v13, sext(v2) dst_sel:DWORD dst_unused:UNUSED_PAD src0_sel:BYTE_0
	s_waitcnt vmcnt(0)
	v_cvt_f32_i32_sdwa v12, sext(v10) dst_sel:DWORD dst_unused:UNUSED_PAD src0_sel:BYTE_0
	v_cvt_f32_i32_sdwa v15, sext(v10) dst_sel:DWORD dst_unused:UNUSED_PAD src0_sel:BYTE_1
	v_cvt_f32_i32_sdwa v17, sext(v10) dst_sel:DWORD dst_unused:UNUSED_PAD src0_sel:BYTE_2
	v_rcp_iflag_f32_e32 v18, v13
	v_xor_b32_sdwa v11, sext(v10), sext(v2) dst_sel:DWORD dst_unused:UNUSED_PAD src0_sel:BYTE_0 src1_sel:BYTE_0
	v_xor_b32_sdwa v14, sext(v10), sext(v2) dst_sel:DWORD dst_unused:UNUSED_PAD src0_sel:BYTE_1 src1_sel:BYTE_0
	v_xor_b32_sdwa v16, sext(v10), sext(v2) dst_sel:DWORD dst_unused:UNUSED_PAD src0_sel:BYTE_2 src1_sel:BYTE_0
	v_xor_b32_sdwa v2, sext(v10), sext(v2) dst_sel:DWORD dst_unused:UNUSED_PAD src0_sel:BYTE_3 src1_sel:BYTE_0
	v_cvt_f32_i32_sdwa v10, sext(v10) dst_sel:DWORD dst_unused:UNUSED_PAD src0_sel:BYTE_3
	v_mul_f32_e32 v19, v12, v18
	v_mul_f32_e32 v20, v15, v18
	;; [unrolled: 1-line block ×3, first 2 shown]
	v_trunc_f32_e32 v19, v19
	v_ashrrev_i32_e32 v11, 30, v11
	v_trunc_f32_e32 v20, v20
	v_trunc_f32_e32 v21, v21
	v_mad_f32 v12, -v19, v13, v12
	v_ashrrev_i32_e32 v14, 30, v14
	v_or_b32_e32 v11, 1, v11
	v_mul_f32_e32 v18, v10, v18
	v_cvt_i32_f32_e32 v19, v19
	v_mad_f32 v15, -v20, v13, v15
	v_cvt_i32_f32_e32 v20, v20
	v_mad_f32 v17, -v21, v13, v17
	v_cvt_i32_f32_e32 v21, v21
	v_cmp_ge_f32_e64 vcc, |v12|, |v13|
	v_ashrrev_i32_e32 v16, 30, v16
	v_or_b32_e32 v14, 1, v14
	v_trunc_f32_e32 v18, v18
	v_cndmask_b32_e32 v11, 0, v11, vcc
	v_cmp_ge_f32_e64 vcc, |v15|, |v13|
	v_or_b32_e32 v16, 1, v16
	v_mad_f32 v10, -v18, v13, v10
	v_cvt_i32_f32_e32 v18, v18
	v_cndmask_b32_e32 v12, 0, v14, vcc
	v_cmp_ge_f32_e64 vcc, |v17|, |v13|
	v_ashrrev_i32_e32 v2, 30, v2
	v_cndmask_b32_e32 v14, 0, v16, vcc
	v_or_b32_e32 v2, 1, v2
	v_cmp_ge_f32_e64 vcc, |v10|, |v13|
	v_add_u32_e32 v10, v19, v11
	v_add_u32_sdwa v11, v20, v12 dst_sel:BYTE_1 dst_unused:UNUSED_PAD src0_sel:DWORD src1_sel:DWORD
	v_add_u32_e32 v12, v21, v14
	v_cndmask_b32_e32 v2, 0, v2, vcc
	v_and_b32_e32 v12, 0xff, v12
	v_add_u32_e32 v2, v18, v2
	v_lshlrev_b32_e32 v12, 16, v12
	v_and_b32_e32 v10, 0xff, v10
	v_lshl_or_b32 v2, v2, 24, v12
	v_or3_b32 v2, v2, v11, v10
	global_store_dword v[8:9], v2, off
	s_andn2_b64 exec, exec, s[18:19]
	s_cbranch_execnz .LBB61_3
.LBB61_4:
	s_or_b64 exec, exec, s[16:17]
	s_mov_b64 s[0:1], 0
.LBB61_5:
	s_andn2_b64 vcc, exec, s[0:1]
	s_cbranch_vccnz .LBB61_25
; %bb.6:
	v_cmp_lt_i64_e64 s[0:1], s[12:13], 1
	s_and_b64 vcc, exec, s[0:1]
	s_cbranch_vccnz .LBB61_25
; %bb.7:
	s_load_dword s0, s[4:5], 0xc6c
	v_mov_b32_e32 v2, 0x10000
	v_mov_b32_e32 v3, 0
	v_cmp_lt_u64_e32 vcc, s[12:13], v[2:3]
	v_mov_b32_e32 v2, s15
	s_waitcnt lgkmcnt(0)
	s_and_b32 s4, s0, 0xffff
	s_and_b64 s[0:1], vcc, exec
	v_add_co_u32_e32 v3, vcc, s14, v0
	v_addc_co_u32_e32 v2, vcc, 0, v2, vcc
	v_mov_b32_e32 v21, s3
	v_add_co_u32_e32 v4, vcc, s2, v3
	s_cselect_b32 s11, s13, 0
	s_cselect_b32 s10, s12, 0x10000
	s_lshl_b32 s5, s4, 1
	s_mul_i32 s0, s4, 3
	s_lshl_b32 s16, s4, 2
	s_and_b32 s17, s22, 0xff
	v_addc_co_u32_e32 v5, vcc, v21, v2, vcc
	v_mov_b32_e32 v23, s7
	v_add_co_u32_e32 v6, vcc, s6, v3
	s_add_u32 s1, s14, s0
	v_addc_co_u32_e32 v7, vcc, v23, v2, vcc
	s_addc_u32 s3, s15, 0
	v_mov_b32_e32 v8, s3
	v_add_co_u32_e32 v10, vcc, s1, v0
	v_addc_co_u32_e32 v11, vcc, 0, v8, vcc
	v_add_co_u32_e32 v8, vcc, s2, v10
	v_addc_co_u32_e32 v9, vcc, v21, v11, vcc
	v_add_co_u32_e32 v10, vcc, s6, v10
	v_addc_co_u32_e32 v11, vcc, v23, v11, vcc
	v_add_co_u32_e32 v12, vcc, s0, v0
	v_addc_co_u32_e64 v13, s[0:1], 0, 0, vcc
	s_add_u32 s0, s14, s5
	s_addc_u32 s1, s15, 0
	v_mov_b32_e32 v14, s1
	v_add_co_u32_e32 v16, vcc, s0, v0
	v_addc_co_u32_e32 v17, vcc, 0, v14, vcc
	v_add_co_u32_e32 v14, vcc, s2, v16
	v_addc_co_u32_e32 v15, vcc, v21, v17, vcc
	;; [unrolled: 2-line block ×3, first 2 shown]
	v_add_co_u32_e32 v18, vcc, s5, v0
	v_addc_co_u32_e64 v19, s[0:1], 0, 0, vcc
	v_add_co_u32_e32 v3, vcc, s4, v3
	v_addc_co_u32_e32 v2, vcc, 0, v2, vcc
	v_add_co_u32_e32 v20, vcc, s2, v3
	v_addc_co_u32_e32 v21, vcc, v21, v2, vcc
	;; [unrolled: 2-line block ×3, first 2 shown]
	v_add_co_u32_e32 v24, vcc, s4, v0
	v_mov_b32_e32 v1, 0
	v_addc_co_u32_e64 v25, s[0:1], 0, 0, vcc
	s_mov_b64 s[14:15], 0
	v_pk_mov_b32 v[2:3], s[12:13], s[12:13] op_sel:[0,1]
	s_branch .LBB61_9
.LBB61_8:                               ;   in Loop: Header=BB61_9 Depth=1
	s_or_b64 exec, exec, s[0:1]
	s_add_u32 s14, s14, s16
	v_mov_b32_e32 v26, 0xffff
	s_addc_u32 s15, s15, 0
	v_mov_b32_e32 v27, 0
	v_cmp_ge_i64_e32 vcc, s[14:15], v[2:3]
	v_cmp_gt_u64_e64 s[0:1], s[14:15], v[26:27]
	s_or_b64 s[0:1], vcc, s[0:1]
	s_and_b64 vcc, exec, s[0:1]
	s_cbranch_vccnz .LBB61_25
.LBB61_9:                               ; =>This Inner Loop Header: Depth=1
	v_mov_b32_e32 v27, s15
	v_add_co_u32_e32 v26, vcc, s14, v0
	v_addc_co_u32_e32 v27, vcc, 0, v27, vcc
	v_cmp_gt_u64_e64 s[4:5], s[10:11], v[26:27]
	v_mov_b32_e32 v31, 0
	s_and_saveexec_b64 s[0:1], s[4:5]
	s_cbranch_execz .LBB61_11
; %bb.10:                               ;   in Loop: Header=BB61_9 Depth=1
	v_mov_b32_e32 v27, s15
	v_add_co_u32_e32 v26, vcc, s14, v4
	v_addc_co_u32_e32 v27, vcc, v5, v27, vcc
	global_load_ubyte v31, v[26:27], off
.LBB61_11:                              ;   in Loop: Header=BB61_9 Depth=1
	s_or_b64 exec, exec, s[0:1]
	v_mov_b32_e32 v27, s15
	v_add_co_u32_e32 v26, vcc, s14, v24
	v_addc_co_u32_e32 v27, vcc, v25, v27, vcc
	v_cmp_gt_u64_e64 s[2:3], s[10:11], v[26:27]
	v_mov_b32_e32 v26, 0
	v_mov_b32_e32 v32, 0
	s_and_saveexec_b64 s[0:1], s[2:3]
	s_cbranch_execz .LBB61_13
; %bb.12:                               ;   in Loop: Header=BB61_9 Depth=1
	v_mov_b32_e32 v27, s15
	v_add_co_u32_e32 v28, vcc, s14, v20
	v_addc_co_u32_e32 v29, vcc, v21, v27, vcc
	global_load_ubyte v32, v[28:29], off
.LBB61_13:                              ;   in Loop: Header=BB61_9 Depth=1
	s_or_b64 exec, exec, s[0:1]
	v_mov_b32_e32 v27, s15
	v_add_co_u32_e32 v28, vcc, s14, v18
	v_addc_co_u32_e32 v29, vcc, v19, v27, vcc
	v_cmp_gt_u64_e64 s[0:1], s[10:11], v[28:29]
	s_and_saveexec_b64 s[6:7], s[0:1]
	s_cbranch_execz .LBB61_15
; %bb.14:                               ;   in Loop: Header=BB61_9 Depth=1
	v_mov_b32_e32 v27, s15
	v_add_co_u32_e32 v26, vcc, s14, v14
	v_addc_co_u32_e32 v27, vcc, v15, v27, vcc
	global_load_ubyte v26, v[26:27], off
.LBB61_15:                              ;   in Loop: Header=BB61_9 Depth=1
	s_or_b64 exec, exec, s[6:7]
	v_mov_b32_e32 v27, s15
	v_add_co_u32_e32 v28, vcc, s14, v12
	v_addc_co_u32_e32 v29, vcc, v13, v27, vcc
	v_cmp_gt_u64_e32 vcc, s[10:11], v[28:29]
	v_mov_b32_e32 v27, 0
	s_and_saveexec_b64 s[12:13], vcc
	s_cbranch_execz .LBB61_17
; %bb.16:                               ;   in Loop: Header=BB61_9 Depth=1
	v_mov_b32_e32 v27, s15
	v_add_co_u32_e64 v28, s[6:7], s14, v8
	v_addc_co_u32_e64 v29, s[6:7], v9, v27, s[6:7]
	global_load_ubyte v27, v[28:29], off
.LBB61_17:                              ;   in Loop: Header=BB61_9 Depth=1
	s_or_b64 exec, exec, s[12:13]
	global_load_ubyte v28, v1, s[8:9]
	s_waitcnt vmcnt(0)
	v_mul_lo_u32 v30, v28, s17
	v_cvt_f32_i32_sdwa v28, sext(v30) dst_sel:DWORD dst_unused:UNUSED_PAD src0_sel:BYTE_0
	v_rcp_iflag_f32_e32 v29, v28
	s_and_saveexec_b64 s[6:7], s[4:5]
	s_cbranch_execnz .LBB61_21
; %bb.18:                               ;   in Loop: Header=BB61_9 Depth=1
	s_or_b64 exec, exec, s[6:7]
	v_and_b32_e32 v31, 0x7fffffff, v28
	s_and_saveexec_b64 s[4:5], s[2:3]
	s_cbranch_execnz .LBB61_22
.LBB61_19:                              ;   in Loop: Header=BB61_9 Depth=1
	s_or_b64 exec, exec, s[4:5]
	s_and_saveexec_b64 s[2:3], s[0:1]
	s_cbranch_execnz .LBB61_23
.LBB61_20:                              ;   in Loop: Header=BB61_9 Depth=1
	s_or_b64 exec, exec, s[2:3]
	s_and_saveexec_b64 s[0:1], vcc
	s_cbranch_execz .LBB61_8
	s_branch .LBB61_24
.LBB61_21:                              ;   in Loop: Header=BB61_9 Depth=1
	v_mov_b32_e32 v33, s15
	v_add_co_u32_e64 v34, s[4:5], s14, v6
	v_bfe_i32 v31, v31, 0, 8
	v_addc_co_u32_e64 v35, s[4:5], v7, v33, s[4:5]
	v_cvt_f32_i32_e32 v33, v31
	v_xor_b32_sdwa v31, v31, sext(v30) dst_sel:DWORD dst_unused:UNUSED_PAD src0_sel:DWORD src1_sel:BYTE_0
	v_ashrrev_i32_e32 v31, 30, v31
	v_or_b32_e32 v31, 1, v31
	v_mul_f32_e32 v36, v33, v29
	v_trunc_f32_e32 v36, v36
	v_cvt_i32_f32_e32 v37, v36
	v_mad_f32 v33, -v36, v28, v33
	v_cmp_ge_f32_e64 s[4:5], |v33|, |v28|
	v_cndmask_b32_e64 v31, 0, v31, s[4:5]
	v_add_u32_e32 v31, v37, v31
	global_store_byte v[34:35], v31, off
	s_or_b64 exec, exec, s[6:7]
	v_and_b32_e32 v31, 0x7fffffff, v28
	s_and_saveexec_b64 s[4:5], s[2:3]
	s_cbranch_execz .LBB61_19
.LBB61_22:                              ;   in Loop: Header=BB61_9 Depth=1
	v_bfe_i32 v32, v32, 0, 8
	v_cvt_f32_i32_e32 v33, v32
	v_xor_b32_sdwa v32, v32, sext(v30) dst_sel:DWORD dst_unused:UNUSED_PAD src0_sel:DWORD src1_sel:BYTE_0
	v_ashrrev_i32_e32 v32, 30, v32
	v_or_b32_e32 v32, 1, v32
	v_mul_f32_e32 v34, v33, v29
	v_trunc_f32_e32 v34, v34
	v_cvt_i32_f32_e32 v35, v34
	v_mad_f32 v33, -v34, v28, v33
	v_cmp_ge_f32_e64 s[2:3], |v33|, v31
	v_cndmask_b32_e64 v32, 0, v32, s[2:3]
	v_add_u32_e32 v34, v35, v32
	v_mov_b32_e32 v33, s15
	v_add_co_u32_e64 v32, s[2:3], s14, v22
	v_addc_co_u32_e64 v33, s[2:3], v23, v33, s[2:3]
	global_store_byte v[32:33], v34, off
	s_or_b64 exec, exec, s[4:5]
	s_and_saveexec_b64 s[2:3], s[0:1]
	s_cbranch_execz .LBB61_20
.LBB61_23:                              ;   in Loop: Header=BB61_9 Depth=1
	v_bfe_i32 v26, v26, 0, 8
	v_cvt_f32_i32_e32 v32, v26
	v_xor_b32_sdwa v26, v26, sext(v30) dst_sel:DWORD dst_unused:UNUSED_PAD src0_sel:DWORD src1_sel:BYTE_0
	v_ashrrev_i32_e32 v26, 30, v26
	v_or_b32_e32 v26, 1, v26
	v_mul_f32_e32 v33, v32, v29
	v_trunc_f32_e32 v33, v33
	v_cvt_i32_f32_e32 v34, v33
	v_mad_f32 v32, -v33, v28, v32
	v_cmp_ge_f32_e64 s[0:1], |v32|, v31
	v_cndmask_b32_e64 v26, 0, v26, s[0:1]
	v_mov_b32_e32 v33, s15
	v_add_co_u32_e64 v32, s[0:1], s14, v16
	v_add_u32_e32 v26, v34, v26
	v_addc_co_u32_e64 v33, s[0:1], v17, v33, s[0:1]
	global_store_byte v[32:33], v26, off
	s_or_b64 exec, exec, s[2:3]
	s_and_saveexec_b64 s[0:1], vcc
	s_cbranch_execz .LBB61_8
.LBB61_24:                              ;   in Loop: Header=BB61_9 Depth=1
	v_bfe_i32 v26, v27, 0, 8
	v_cvt_f32_i32_e32 v27, v26
	v_xor_b32_sdwa v26, v26, sext(v30) dst_sel:DWORD dst_unused:UNUSED_PAD src0_sel:DWORD src1_sel:BYTE_0
	v_ashrrev_i32_e32 v26, 30, v26
	v_or_b32_e32 v26, 1, v26
	v_mul_f32_e32 v29, v27, v29
	v_trunc_f32_e32 v29, v29
	v_cvt_i32_f32_e32 v30, v29
	v_mad_f32 v27, -v29, v28, v27
	v_cmp_ge_f32_e64 vcc, |v27|, v31
	v_cndmask_b32_e32 v26, 0, v26, vcc
	v_add_u32_e32 v28, v30, v26
	v_mov_b32_e32 v27, s15
	v_add_co_u32_e32 v26, vcc, s14, v10
	v_addc_co_u32_e32 v27, vcc, v11, v27, vcc
	global_store_byte v[26:27], v28, off
	s_branch .LBB61_8
.LBB61_25:
	s_endpgm
	.section	.rodata,"a",@progbits
	.p2align	6, 0x0
	.amdhsa_kernel _ZN2at6native12_GLOBAL__N_125multi_tensor_apply_kernelINS1_18TensorListMetadataILi2EEENS1_27BinaryOpScalarTensorFunctorIaLi2ELi1ELi1EEEJSt7dividesIaEPaaEEEvT_T0_DpT1_
		.amdhsa_group_segment_fixed_size 0
		.amdhsa_private_segment_fixed_size 0
		.amdhsa_kernarg_size 3424
		.amdhsa_user_sgpr_count 6
		.amdhsa_user_sgpr_private_segment_buffer 1
		.amdhsa_user_sgpr_dispatch_ptr 0
		.amdhsa_user_sgpr_queue_ptr 0
		.amdhsa_user_sgpr_kernarg_segment_ptr 1
		.amdhsa_user_sgpr_dispatch_id 0
		.amdhsa_user_sgpr_flat_scratch_init 0
		.amdhsa_user_sgpr_kernarg_preload_length 0
		.amdhsa_user_sgpr_kernarg_preload_offset 0
		.amdhsa_user_sgpr_private_segment_size 0
		.amdhsa_uses_dynamic_stack 0
		.amdhsa_system_sgpr_private_segment_wavefront_offset 0
		.amdhsa_system_sgpr_workgroup_id_x 1
		.amdhsa_system_sgpr_workgroup_id_y 0
		.amdhsa_system_sgpr_workgroup_id_z 0
		.amdhsa_system_sgpr_workgroup_info 0
		.amdhsa_system_vgpr_workitem_id 0
		.amdhsa_next_free_vgpr 38
		.amdhsa_next_free_sgpr 25
		.amdhsa_accum_offset 40
		.amdhsa_reserve_vcc 1
		.amdhsa_reserve_flat_scratch 0
		.amdhsa_float_round_mode_32 0
		.amdhsa_float_round_mode_16_64 0
		.amdhsa_float_denorm_mode_32 3
		.amdhsa_float_denorm_mode_16_64 3
		.amdhsa_dx10_clamp 1
		.amdhsa_ieee_mode 1
		.amdhsa_fp16_overflow 0
		.amdhsa_tg_split 0
		.amdhsa_exception_fp_ieee_invalid_op 0
		.amdhsa_exception_fp_denorm_src 0
		.amdhsa_exception_fp_ieee_div_zero 0
		.amdhsa_exception_fp_ieee_overflow 0
		.amdhsa_exception_fp_ieee_underflow 0
		.amdhsa_exception_fp_ieee_inexact 0
		.amdhsa_exception_int_div_zero 0
	.end_amdhsa_kernel
	.section	.text._ZN2at6native12_GLOBAL__N_125multi_tensor_apply_kernelINS1_18TensorListMetadataILi2EEENS1_27BinaryOpScalarTensorFunctorIaLi2ELi1ELi1EEEJSt7dividesIaEPaaEEEvT_T0_DpT1_,"axG",@progbits,_ZN2at6native12_GLOBAL__N_125multi_tensor_apply_kernelINS1_18TensorListMetadataILi2EEENS1_27BinaryOpScalarTensorFunctorIaLi2ELi1ELi1EEEJSt7dividesIaEPaaEEEvT_T0_DpT1_,comdat
.Lfunc_end61:
	.size	_ZN2at6native12_GLOBAL__N_125multi_tensor_apply_kernelINS1_18TensorListMetadataILi2EEENS1_27BinaryOpScalarTensorFunctorIaLi2ELi1ELi1EEEJSt7dividesIaEPaaEEEvT_T0_DpT1_, .Lfunc_end61-_ZN2at6native12_GLOBAL__N_125multi_tensor_apply_kernelINS1_18TensorListMetadataILi2EEENS1_27BinaryOpScalarTensorFunctorIaLi2ELi1ELi1EEEJSt7dividesIaEPaaEEEvT_T0_DpT1_
                                        ; -- End function
	.section	.AMDGPU.csdata,"",@progbits
; Kernel info:
; codeLenInByte = 1712
; NumSgprs: 29
; NumVgprs: 38
; NumAgprs: 0
; TotalNumVgprs: 38
; ScratchSize: 0
; MemoryBound: 0
; FloatMode: 240
; IeeeMode: 1
; LDSByteSize: 0 bytes/workgroup (compile time only)
; SGPRBlocks: 3
; VGPRBlocks: 4
; NumSGPRsForWavesPerEU: 29
; NumVGPRsForWavesPerEU: 38
; AccumOffset: 40
; Occupancy: 8
; WaveLimiterHint : 0
; COMPUTE_PGM_RSRC2:SCRATCH_EN: 0
; COMPUTE_PGM_RSRC2:USER_SGPR: 6
; COMPUTE_PGM_RSRC2:TRAP_HANDLER: 0
; COMPUTE_PGM_RSRC2:TGID_X_EN: 1
; COMPUTE_PGM_RSRC2:TGID_Y_EN: 0
; COMPUTE_PGM_RSRC2:TGID_Z_EN: 0
; COMPUTE_PGM_RSRC2:TIDIG_COMP_CNT: 0
; COMPUTE_PGM_RSRC3_GFX90A:ACCUM_OFFSET: 9
; COMPUTE_PGM_RSRC3_GFX90A:TG_SPLIT: 0
	.section	.text._ZN2at6native12_GLOBAL__N_125multi_tensor_apply_kernelINS1_18TensorListMetadataILi2EEENS1_27BinaryOpScalarTensorFunctorIiLi2ELi1ELi1EEEJSt7dividesIiEPiiEEEvT_T0_DpT1_,"axG",@progbits,_ZN2at6native12_GLOBAL__N_125multi_tensor_apply_kernelINS1_18TensorListMetadataILi2EEENS1_27BinaryOpScalarTensorFunctorIiLi2ELi1ELi1EEEJSt7dividesIiEPiiEEEvT_T0_DpT1_,comdat
	.globl	_ZN2at6native12_GLOBAL__N_125multi_tensor_apply_kernelINS1_18TensorListMetadataILi2EEENS1_27BinaryOpScalarTensorFunctorIiLi2ELi1ELi1EEEJSt7dividesIiEPiiEEEvT_T0_DpT1_ ; -- Begin function _ZN2at6native12_GLOBAL__N_125multi_tensor_apply_kernelINS1_18TensorListMetadataILi2EEENS1_27BinaryOpScalarTensorFunctorIiLi2ELi1ELi1EEEJSt7dividesIiEPiiEEEvT_T0_DpT1_
	.p2align	8
	.type	_ZN2at6native12_GLOBAL__N_125multi_tensor_apply_kernelINS1_18TensorListMetadataILi2EEENS1_27BinaryOpScalarTensorFunctorIiLi2ELi1ELi1EEEJSt7dividesIiEPiiEEEvT_T0_DpT1_,@function
_ZN2at6native12_GLOBAL__N_125multi_tensor_apply_kernelINS1_18TensorListMetadataILi2EEENS1_27BinaryOpScalarTensorFunctorIiLi2ELi1ELi1EEEJSt7dividesIiEPiiEEEvT_T0_DpT1_: ; @_ZN2at6native12_GLOBAL__N_125multi_tensor_apply_kernelINS1_18TensorListMetadataILi2EEENS1_27BinaryOpScalarTensorFunctorIiLi2ELi1ELi1EEEJSt7dividesIiEPiiEEEvT_T0_DpT1_
; %bb.0:
	v_mov_b32_e32 v1, s6
	global_load_ubyte v1, v1, s[4:5] offset:1536
	s_load_dword s24, s[4:5], 0xc58
	s_add_u32 s0, s4, s6
	s_mul_hi_u32 s2, s6, 3
	s_mul_i32 s6, s6, 3
	s_addc_u32 s7, s5, 0
	s_add_u32 s6, s0, s6
	s_addc_u32 s7, s7, s2
	s_load_dword s6, s[6:7], 0x740
	s_mov_b32 s1, 0
	s_mov_b32 s15, s1
	;; [unrolled: 1-line block ×3, first 2 shown]
	s_waitcnt lgkmcnt(0)
	s_ashr_i32 s7, s6, 31
	s_lshl_b64 s[10:11], s[6:7], 18
	s_lshl_b64 s[6:7], s[6:7], 16
	s_waitcnt vmcnt(0)
	v_readfirstlane_b32 s0, v1
	s_lshl_b32 s0, s0, 3
	s_load_dwordx2 s[18:19], s[4:5], s0 offset:0x0
	s_load_dwordx2 s[8:9], s[4:5], 0xc50
	s_load_dwordx2 s[12:13], s[4:5], s0 offset:0x400
	s_load_dwordx2 s[16:17], s[4:5], s0 offset:0x200
	s_waitcnt lgkmcnt(0)
	s_and_b32 s0, s18, 15
	s_and_b32 s14, s12, 3
	;; [unrolled: 1-line block ×3, first 2 shown]
	s_or_b64 s[14:15], s[0:1], s[14:15]
	s_or_b64 s[2:3], s[2:3], s[14:15]
	s_sub_u32 s12, s12, s6
	s_subb_u32 s13, s13, s7
	s_cmp_eq_u64 s[2:3], 0
	s_mov_b64 s[2:3], -1
	s_cbranch_scc0 .LBB62_5
; %bb.1:
	v_mov_b32_e32 v3, 0
	v_lshlrev_b32_e32 v2, 2, v0
	v_cmp_gt_i64_e32 vcc, s[12:13], v[2:3]
	s_and_saveexec_b64 s[14:15], vcc
	s_cbranch_execz .LBB62_4
; %bb.2:
	s_load_dword s0, s[4:5], 0xc6c
	v_lshlrev_b32_e32 v1, 4, v0
	v_mov_b32_e32 v4, s11
	v_add_co_u32_e32 v1, vcc, s10, v1
	s_waitcnt lgkmcnt(0)
	s_and_b32 s0, s0, 0xffff
	v_addc_co_u32_e32 v5, vcc, 0, v4, vcc
	v_add_lshl_u32 v2, v0, s0, 2
	v_add_co_u32_e32 v4, vcc, 8, v1
	s_lshl_b32 s25, s0, 2
	v_addc_co_u32_e32 v1, vcc, 0, v5, vcc
	s_lshl_b32 s26, s0, 4
	s_mov_b64 s[20:21], 0
	v_mov_b32_e32 v5, s19
	v_mov_b32_e32 v8, s17
	s_mov_b64 s[22:23], 0xffff
	v_mov_b32_e32 v9, s1
	v_mov_b32_e32 v10, s1
	v_pk_mov_b32 v[6:7], v[2:3], v[2:3] op_sel:[0,1]
.LBB62_3:                               ; =>This Inner Loop Header: Depth=1
	v_add_co_u32_e32 v12, vcc, s18, v4
	global_load_dword v2, v3, s[8:9]
	v_addc_co_u32_e32 v13, vcc, v5, v1, vcc
	global_load_dwordx4 v[12:15], v[12:13], off offset:-8
	v_add_co_u32_e32 v16, vcc, s16, v4
	v_addc_co_u32_e32 v17, vcc, v8, v1, vcc
	v_cmp_le_i64_e32 vcc, s[12:13], v[6:7]
	v_cmp_lt_u64_e64 s[0:1], s[22:23], v[6:7]
	v_add_co_u32_e64 v6, s[2:3], s25, v6
	v_addc_co_u32_e64 v7, s[2:3], v7, v9, s[2:3]
	v_add_co_u32_e64 v4, s[2:3], s26, v4
	v_addc_co_u32_e64 v1, s[2:3], v1, v10, s[2:3]
	s_or_b64 s[0:1], vcc, s[0:1]
	s_waitcnt vmcnt(1)
	v_readfirstlane_b32 s2, v2
	s_mul_i32 s2, s2, s24
	s_abs_i32 s27, s2
	s_waitcnt vmcnt(0)
	v_sub_u32_e32 v11, 0, v12
	v_sub_u32_e32 v19, 0, v13
	;; [unrolled: 1-line block ×4, first 2 shown]
	v_ashrrev_i32_e32 v2, 31, v12
	v_ashrrev_i32_e32 v18, 31, v13
	;; [unrolled: 1-line block ×4, first 2 shown]
	v_max_i32_e32 v11, v12, v11
	v_max_i32_e32 v12, v13, v19
	;; [unrolled: 1-line block ×4, first 2 shown]
	v_cvt_f32_u32_e32 v15, s27
	s_ashr_i32 s3, s2, 31
	s_sub_i32 s2, 0, s27
	v_xor_b32_e32 v19, s3, v20
	v_rcp_iflag_f32_e32 v15, v15
	v_xor_b32_e32 v20, s3, v22
	s_and_b64 s[0:1], exec, s[0:1]
	s_or_b64 s[20:21], s[0:1], s[20:21]
	v_mul_f32_e32 v15, 0x4f7ffffe, v15
	v_cvt_u32_f32_e32 v15, v15
	v_xor_b32_e32 v2, s3, v2
	v_xor_b32_e32 v18, s3, v18
	v_mul_lo_u32 v21, s2, v15
	v_mul_hi_u32 v21, v15, v21
	v_add_u32_e32 v15, v15, v21
	v_mul_hi_u32 v21, v11, v15
	v_mul_hi_u32 v22, v12, v15
	v_mul_lo_u32 v24, v21, s27
	v_mul_hi_u32 v23, v13, v15
	v_mul_lo_u32 v26, v22, s27
	v_sub_u32_e32 v11, v11, v24
	v_mul_hi_u32 v15, v14, v15
	v_add_u32_e32 v25, 1, v21
	v_mul_lo_u32 v28, v23, s27
	v_sub_u32_e32 v12, v12, v26
	v_cmp_le_u32_e32 vcc, s27, v11
	v_subrev_u32_e32 v24, s27, v11
	v_add_u32_e32 v27, 1, v22
	v_mul_lo_u32 v30, v15, s27
	v_sub_u32_e32 v13, v13, v28
	v_cndmask_b32_e32 v21, v21, v25, vcc
	v_cmp_le_u32_e64 s[0:1], s27, v12
	v_subrev_u32_e32 v25, s27, v12
	v_cndmask_b32_e32 v11, v11, v24, vcc
	v_add_u32_e32 v29, 1, v23
	v_sub_u32_e32 v14, v14, v30
	v_cndmask_b32_e64 v22, v22, v27, s[0:1]
	v_cmp_le_u32_e64 s[2:3], s27, v13
	v_subrev_u32_e32 v26, s27, v13
	v_add_u32_e32 v24, 1, v21
	v_cndmask_b32_e64 v12, v12, v25, s[0:1]
	v_cmp_le_u32_e32 vcc, s27, v11
	v_add_u32_e32 v31, 1, v15
	v_cndmask_b32_e64 v23, v23, v29, s[2:3]
	v_cmp_le_u32_e64 s[6:7], s27, v14
	v_subrev_u32_e32 v27, s27, v14
	v_add_u32_e32 v25, 1, v22
	v_cndmask_b32_e64 v13, v13, v26, s[2:3]
	v_cndmask_b32_e32 v11, v21, v24, vcc
	v_cmp_le_u32_e32 vcc, s27, v12
	v_cndmask_b32_e64 v15, v15, v31, s[6:7]
	v_add_u32_e32 v26, 1, v23
	v_cndmask_b32_e64 v14, v14, v27, s[6:7]
	v_cndmask_b32_e32 v12, v22, v25, vcc
	v_cmp_le_u32_e32 vcc, s27, v13
	v_add_u32_e32 v27, 1, v15
	v_cndmask_b32_e32 v13, v23, v26, vcc
	v_cmp_le_u32_e32 vcc, s27, v14
	v_cndmask_b32_e32 v14, v15, v27, vcc
	v_xor_b32_e32 v11, v11, v2
	v_xor_b32_e32 v15, v12, v18
	;; [unrolled: 1-line block ×4, first 2 shown]
	v_sub_u32_e32 v12, v11, v2
	v_sub_u32_e32 v13, v15, v18
	;; [unrolled: 1-line block ×4, first 2 shown]
	global_store_dwordx4 v[16:17], v[12:15], off offset:-8
	s_andn2_b64 exec, exec, s[20:21]
	s_cbranch_execnz .LBB62_3
.LBB62_4:
	s_or_b64 exec, exec, s[14:15]
	s_mov_b64 s[2:3], 0
.LBB62_5:
	s_andn2_b64 vcc, exec, s[2:3]
	s_cbranch_vccnz .LBB62_25
; %bb.6:
	v_cmp_lt_i64_e64 s[0:1], s[12:13], 1
	s_and_b64 vcc, exec, s[0:1]
	s_cbranch_vccnz .LBB62_25
; %bb.7:
	s_load_dword s0, s[4:5], 0xc6c
	v_mov_b32_e32 v4, 0x10000
	v_mov_b32_e32 v5, 0
	v_cmp_lt_u64_e32 vcc, s[12:13], v[4:5]
	v_lshlrev_b32_e32 v2, 2, v0
	s_waitcnt lgkmcnt(0)
	s_and_b32 s2, s0, 0xffff
	s_and_b64 s[0:1], vcc, exec
	v_mov_b32_e32 v15, s19
	v_add_co_u32_e32 v4, vcc, s18, v2
	v_addc_co_u32_e32 v1, vcc, 0, v15, vcc
	v_mov_b32_e32 v3, 0
	v_mov_b32_e32 v17, s17
	v_add_co_u32_e32 v6, vcc, s16, v2
	v_addc_co_u32_e32 v5, vcc, 0, v17, vcc
	v_mad_u64_u32 v[10:11], s[0:1], s2, 12, v[2:3]
	v_add_co_u32_e32 v8, vcc, s18, v10
	v_addc_co_u32_e32 v7, vcc, v15, v11, vcc
	v_add_co_u32_e32 v10, vcc, s16, v10
	s_mul_i32 s4, s2, 3
	v_addc_co_u32_e32 v9, vcc, v17, v11, vcc
	v_add_co_u32_e32 v18, vcc, s4, v0
	v_addc_co_u32_e64 v19, s[0:1], 0, 0, vcc
	s_cselect_b32 s15, s13, 0
	s_cselect_b32 s14, s12, 0x10000
	s_lshl_b32 s0, s2, 3
	v_add_co_u32_e32 v12, vcc, s0, v2
	v_addc_co_u32_e64 v13, s[0:1], 0, 0, vcc
	v_add_co_u32_e32 v2, vcc, s18, v12
	v_addc_co_u32_e32 v11, vcc, v15, v13, vcc
	v_add_co_u32_e32 v12, vcc, s16, v12
	s_lshl_b32 s3, s2, 1
	v_addc_co_u32_e32 v13, vcc, v17, v13, vcc
	v_add_co_u32_e32 v20, vcc, s3, v0
	v_addc_co_u32_e64 v21, s[0:1], 0, 0, vcc
	v_add_co_u32_e32 v22, vcc, s2, v0
	v_lshlrev_b32_e32 v16, 2, v22
	v_addc_co_u32_e64 v23, s[0:1], 0, 0, vcc
	v_add_co_u32_e32 v14, vcc, s18, v16
	v_addc_co_u32_e32 v15, vcc, 0, v15, vcc
	v_add_co_u32_e32 v16, vcc, s16, v16
	s_mov_b32 s20, 0
	s_lshl_b32 s21, s2, 2
	s_lshl_b32 s22, s2, 4
	v_addc_co_u32_e32 v17, vcc, 0, v17, vcc
	s_mov_b64 s[16:17], 0
	s_branch .LBB62_9
.LBB62_8:                               ;   in Loop: Header=BB62_9 Depth=1
	s_or_b64 exec, exec, s[0:1]
	s_add_u32 s16, s16, s21
	s_addc_u32 s17, s17, 0
	v_pk_mov_b32 v[24:25], s[12:13], s[12:13] op_sel:[0,1]
	v_cmp_ge_i64_e32 vcc, s[16:17], v[24:25]
	v_mov_b32_e32 v24, 0xffff
	v_mov_b32_e32 v25, 0
	v_cmp_gt_u64_e64 s[0:1], s[16:17], v[24:25]
	s_or_b64 s[0:1], vcc, s[0:1]
	v_mov_b32_e32 v24, s20
	v_add_co_u32_e32 v4, vcc, s22, v4
	v_addc_co_u32_e32 v1, vcc, v1, v24, vcc
	v_add_co_u32_e32 v6, vcc, s22, v6
	v_addc_co_u32_e32 v5, vcc, v5, v24, vcc
	v_add_co_u32_e32 v8, vcc, s22, v8
	v_addc_co_u32_e32 v7, vcc, v7, v24, vcc
	v_add_co_u32_e32 v10, vcc, s22, v10
	v_addc_co_u32_e32 v9, vcc, v9, v24, vcc
	v_add_co_u32_e32 v2, vcc, s22, v2
	v_addc_co_u32_e32 v11, vcc, v11, v24, vcc
	v_add_co_u32_e32 v12, vcc, s22, v12
	v_addc_co_u32_e32 v13, vcc, v13, v24, vcc
	v_add_co_u32_e32 v14, vcc, s22, v14
	v_addc_co_u32_e32 v15, vcc, v15, v24, vcc
	v_add_co_u32_e32 v16, vcc, s22, v16
	v_addc_co_u32_e32 v17, vcc, v17, v24, vcc
	s_and_b64 vcc, exec, s[0:1]
	s_cbranch_vccnz .LBB62_25
.LBB62_9:                               ; =>This Inner Loop Header: Depth=1
	v_mov_b32_e32 v25, s17
	v_add_co_u32_e32 v24, vcc, s16, v0
	v_addc_co_u32_e32 v25, vcc, 0, v25, vcc
	v_cmp_gt_u64_e64 s[4:5], s[14:15], v[24:25]
	v_mov_b32_e32 v27, 0
	s_and_saveexec_b64 s[0:1], s[4:5]
	s_cbranch_execz .LBB62_11
; %bb.10:                               ;   in Loop: Header=BB62_9 Depth=1
	v_mov_b32_e32 v25, s11
	v_add_co_u32_e32 v24, vcc, s10, v4
	v_addc_co_u32_e32 v25, vcc, v1, v25, vcc
	global_load_dword v27, v[24:25], off
.LBB62_11:                              ;   in Loop: Header=BB62_9 Depth=1
	s_or_b64 exec, exec, s[0:1]
	v_mov_b32_e32 v25, s17
	v_add_co_u32_e32 v24, vcc, s16, v22
	v_addc_co_u32_e32 v25, vcc, v23, v25, vcc
	v_cmp_gt_u64_e64 s[2:3], s[14:15], v[24:25]
	v_mov_b32_e32 v24, 0
	v_mov_b32_e32 v26, 0
	s_and_saveexec_b64 s[0:1], s[2:3]
	s_cbranch_execz .LBB62_13
; %bb.12:                               ;   in Loop: Header=BB62_9 Depth=1
	v_mov_b32_e32 v25, s11
	v_add_co_u32_e32 v28, vcc, s10, v14
	v_addc_co_u32_e32 v29, vcc, v15, v25, vcc
	global_load_dword v26, v[28:29], off
.LBB62_13:                              ;   in Loop: Header=BB62_9 Depth=1
	s_or_b64 exec, exec, s[0:1]
	v_mov_b32_e32 v25, s17
	v_add_co_u32_e32 v28, vcc, s16, v20
	v_addc_co_u32_e32 v29, vcc, v21, v25, vcc
	v_cmp_gt_u64_e64 s[0:1], s[14:15], v[28:29]
	s_and_saveexec_b64 s[6:7], s[0:1]
	s_cbranch_execz .LBB62_15
; %bb.14:                               ;   in Loop: Header=BB62_9 Depth=1
	v_mov_b32_e32 v25, s11
	v_add_co_u32_e32 v24, vcc, s10, v2
	v_addc_co_u32_e32 v25, vcc, v11, v25, vcc
	global_load_dword v24, v[24:25], off
.LBB62_15:                              ;   in Loop: Header=BB62_9 Depth=1
	s_or_b64 exec, exec, s[6:7]
	v_mov_b32_e32 v25, s17
	v_add_co_u32_e32 v28, vcc, s16, v18
	v_addc_co_u32_e32 v29, vcc, v19, v25, vcc
	v_cmp_gt_u64_e32 vcc, s[14:15], v[28:29]
	v_mov_b32_e32 v25, 0
	s_and_saveexec_b64 s[18:19], vcc
	s_cbranch_execz .LBB62_17
; %bb.16:                               ;   in Loop: Header=BB62_9 Depth=1
	v_mov_b32_e32 v25, s11
	v_add_co_u32_e64 v28, s[6:7], s10, v8
	v_addc_co_u32_e64 v29, s[6:7], v7, v25, s[6:7]
	global_load_dword v25, v[28:29], off
.LBB62_17:                              ;   in Loop: Header=BB62_9 Depth=1
	s_or_b64 exec, exec, s[18:19]
	global_load_dword v28, v3, s[8:9]
	s_waitcnt vmcnt(0)
	v_readfirstlane_b32 s6, v28
	s_mul_i32 s6, s6, s24
	s_abs_i32 s18, s6
	v_cvt_f32_u32_e32 v28, s18
	s_ashr_i32 s19, s6, 31
	s_sub_i32 s6, 0, s18
	v_rcp_iflag_f32_e32 v28, v28
	v_mul_f32_e32 v28, 0x4f7ffffe, v28
	v_cvt_u32_f32_e32 v28, v28
	v_mul_lo_u32 v29, s6, v28
	v_mul_hi_u32 v29, v28, v29
	v_add_u32_e32 v28, v28, v29
	s_and_saveexec_b64 s[6:7], s[4:5]
	s_cbranch_execnz .LBB62_21
; %bb.18:                               ;   in Loop: Header=BB62_9 Depth=1
	s_or_b64 exec, exec, s[6:7]
	s_and_saveexec_b64 s[4:5], s[2:3]
	s_cbranch_execnz .LBB62_22
.LBB62_19:                              ;   in Loop: Header=BB62_9 Depth=1
	s_or_b64 exec, exec, s[4:5]
	s_and_saveexec_b64 s[2:3], s[0:1]
	s_cbranch_execnz .LBB62_23
.LBB62_20:                              ;   in Loop: Header=BB62_9 Depth=1
	s_or_b64 exec, exec, s[2:3]
	s_and_saveexec_b64 s[0:1], vcc
	s_cbranch_execz .LBB62_8
	s_branch .LBB62_24
.LBB62_21:                              ;   in Loop: Header=BB62_9 Depth=1
	v_mov_b32_e32 v29, s11
	v_add_co_u32_e64 v30, s[4:5], s10, v6
	v_sub_u32_e32 v32, 0, v27
	v_addc_co_u32_e64 v31, s[4:5], v5, v29, s[4:5]
	v_ashrrev_i32_e32 v29, 31, v27
	v_max_i32_e32 v27, v27, v32
	v_mul_hi_u32 v32, v27, v28
	v_mul_lo_u32 v33, v32, s18
	v_sub_u32_e32 v27, v27, v33
	v_add_u32_e32 v33, 1, v32
	v_cmp_le_u32_e64 s[4:5], s18, v27
	v_cndmask_b32_e64 v32, v32, v33, s[4:5]
	v_subrev_u32_e32 v33, s18, v27
	v_cndmask_b32_e64 v27, v27, v33, s[4:5]
	v_add_u32_e32 v33, 1, v32
	v_cmp_le_u32_e64 s[4:5], s18, v27
	v_xor_b32_e32 v29, s19, v29
	v_cndmask_b32_e64 v27, v32, v33, s[4:5]
	v_xor_b32_e32 v27, v27, v29
	v_sub_u32_e32 v27, v27, v29
	global_store_dword v[30:31], v27, off
	s_or_b64 exec, exec, s[6:7]
	s_and_saveexec_b64 s[4:5], s[2:3]
	s_cbranch_execz .LBB62_19
.LBB62_22:                              ;   in Loop: Header=BB62_9 Depth=1
	v_sub_u32_e32 v29, 0, v26
	v_ashrrev_i32_e32 v27, 31, v26
	v_max_i32_e32 v26, v26, v29
	v_mul_hi_u32 v29, v26, v28
	v_mul_lo_u32 v30, v29, s18
	v_sub_u32_e32 v26, v26, v30
	v_add_u32_e32 v30, 1, v29
	v_cmp_le_u32_e64 s[2:3], s18, v26
	v_cndmask_b32_e64 v29, v29, v30, s[2:3]
	v_subrev_u32_e32 v30, s18, v26
	v_cndmask_b32_e64 v26, v26, v30, s[2:3]
	v_add_u32_e32 v30, 1, v29
	v_cmp_le_u32_e64 s[2:3], s18, v26
	v_xor_b32_e32 v27, s19, v27
	v_cndmask_b32_e64 v26, v29, v30, s[2:3]
	v_xor_b32_e32 v26, v26, v27
	v_sub_u32_e32 v29, v26, v27
	v_mov_b32_e32 v27, s11
	v_add_co_u32_e64 v26, s[2:3], s10, v16
	v_addc_co_u32_e64 v27, s[2:3], v17, v27, s[2:3]
	global_store_dword v[26:27], v29, off
	s_or_b64 exec, exec, s[4:5]
	s_and_saveexec_b64 s[2:3], s[0:1]
	s_cbranch_execz .LBB62_20
.LBB62_23:                              ;   in Loop: Header=BB62_9 Depth=1
	v_sub_u32_e32 v27, 0, v24
	v_ashrrev_i32_e32 v26, 31, v24
	v_max_i32_e32 v24, v24, v27
	v_mul_hi_u32 v27, v24, v28
	v_mul_lo_u32 v29, v27, s18
	v_sub_u32_e32 v24, v24, v29
	v_add_u32_e32 v29, 1, v27
	v_cmp_le_u32_e64 s[0:1], s18, v24
	v_cndmask_b32_e64 v27, v27, v29, s[0:1]
	v_subrev_u32_e32 v29, s18, v24
	v_cndmask_b32_e64 v24, v24, v29, s[0:1]
	v_add_u32_e32 v29, 1, v27
	v_cmp_le_u32_e64 s[0:1], s18, v24
	v_xor_b32_e32 v26, s19, v26
	v_cndmask_b32_e64 v24, v27, v29, s[0:1]
	v_xor_b32_e32 v24, v24, v26
	v_sub_u32_e32 v24, v24, v26
	v_mov_b32_e32 v27, s11
	v_add_co_u32_e64 v26, s[0:1], s10, v12
	v_addc_co_u32_e64 v27, s[0:1], v13, v27, s[0:1]
	global_store_dword v[26:27], v24, off
	s_or_b64 exec, exec, s[2:3]
	s_and_saveexec_b64 s[0:1], vcc
	s_cbranch_execz .LBB62_8
.LBB62_24:                              ;   in Loop: Header=BB62_9 Depth=1
	v_sub_u32_e32 v26, 0, v25
	v_ashrrev_i32_e32 v24, 31, v25
	v_max_i32_e32 v25, v25, v26
	v_mul_hi_u32 v26, v25, v28
	v_mul_lo_u32 v27, v26, s18
	v_sub_u32_e32 v25, v25, v27
	v_add_u32_e32 v27, 1, v26
	v_cmp_le_u32_e32 vcc, s18, v25
	v_cndmask_b32_e32 v26, v26, v27, vcc
	v_subrev_u32_e32 v27, s18, v25
	v_cndmask_b32_e32 v25, v25, v27, vcc
	v_add_u32_e32 v27, 1, v26
	v_cmp_le_u32_e32 vcc, s18, v25
	v_xor_b32_e32 v24, s19, v24
	v_cndmask_b32_e32 v25, v26, v27, vcc
	v_xor_b32_e32 v25, v25, v24
	v_sub_u32_e32 v26, v25, v24
	v_mov_b32_e32 v25, s11
	v_add_co_u32_e32 v24, vcc, s10, v10
	v_addc_co_u32_e32 v25, vcc, v9, v25, vcc
	global_store_dword v[24:25], v26, off
	s_branch .LBB62_8
.LBB62_25:
	s_endpgm
	.section	.rodata,"a",@progbits
	.p2align	6, 0x0
	.amdhsa_kernel _ZN2at6native12_GLOBAL__N_125multi_tensor_apply_kernelINS1_18TensorListMetadataILi2EEENS1_27BinaryOpScalarTensorFunctorIiLi2ELi1ELi1EEEJSt7dividesIiEPiiEEEvT_T0_DpT1_
		.amdhsa_group_segment_fixed_size 0
		.amdhsa_private_segment_fixed_size 0
		.amdhsa_kernarg_size 3424
		.amdhsa_user_sgpr_count 6
		.amdhsa_user_sgpr_private_segment_buffer 1
		.amdhsa_user_sgpr_dispatch_ptr 0
		.amdhsa_user_sgpr_queue_ptr 0
		.amdhsa_user_sgpr_kernarg_segment_ptr 1
		.amdhsa_user_sgpr_dispatch_id 0
		.amdhsa_user_sgpr_flat_scratch_init 0
		.amdhsa_user_sgpr_kernarg_preload_length 0
		.amdhsa_user_sgpr_kernarg_preload_offset 0
		.amdhsa_user_sgpr_private_segment_size 0
		.amdhsa_uses_dynamic_stack 0
		.amdhsa_system_sgpr_private_segment_wavefront_offset 0
		.amdhsa_system_sgpr_workgroup_id_x 1
		.amdhsa_system_sgpr_workgroup_id_y 0
		.amdhsa_system_sgpr_workgroup_id_z 0
		.amdhsa_system_sgpr_workgroup_info 0
		.amdhsa_system_vgpr_workitem_id 0
		.amdhsa_next_free_vgpr 34
		.amdhsa_next_free_sgpr 28
		.amdhsa_accum_offset 36
		.amdhsa_reserve_vcc 1
		.amdhsa_reserve_flat_scratch 0
		.amdhsa_float_round_mode_32 0
		.amdhsa_float_round_mode_16_64 0
		.amdhsa_float_denorm_mode_32 3
		.amdhsa_float_denorm_mode_16_64 3
		.amdhsa_dx10_clamp 1
		.amdhsa_ieee_mode 1
		.amdhsa_fp16_overflow 0
		.amdhsa_tg_split 0
		.amdhsa_exception_fp_ieee_invalid_op 0
		.amdhsa_exception_fp_denorm_src 0
		.amdhsa_exception_fp_ieee_div_zero 0
		.amdhsa_exception_fp_ieee_overflow 0
		.amdhsa_exception_fp_ieee_underflow 0
		.amdhsa_exception_fp_ieee_inexact 0
		.amdhsa_exception_int_div_zero 0
	.end_amdhsa_kernel
	.section	.text._ZN2at6native12_GLOBAL__N_125multi_tensor_apply_kernelINS1_18TensorListMetadataILi2EEENS1_27BinaryOpScalarTensorFunctorIiLi2ELi1ELi1EEEJSt7dividesIiEPiiEEEvT_T0_DpT1_,"axG",@progbits,_ZN2at6native12_GLOBAL__N_125multi_tensor_apply_kernelINS1_18TensorListMetadataILi2EEENS1_27BinaryOpScalarTensorFunctorIiLi2ELi1ELi1EEEJSt7dividesIiEPiiEEEvT_T0_DpT1_,comdat
.Lfunc_end62:
	.size	_ZN2at6native12_GLOBAL__N_125multi_tensor_apply_kernelINS1_18TensorListMetadataILi2EEENS1_27BinaryOpScalarTensorFunctorIiLi2ELi1ELi1EEEJSt7dividesIiEPiiEEEvT_T0_DpT1_, .Lfunc_end62-_ZN2at6native12_GLOBAL__N_125multi_tensor_apply_kernelINS1_18TensorListMetadataILi2EEENS1_27BinaryOpScalarTensorFunctorIiLi2ELi1ELi1EEEJSt7dividesIiEPiiEEEvT_T0_DpT1_
                                        ; -- End function
	.section	.AMDGPU.csdata,"",@progbits
; Kernel info:
; codeLenInByte = 2036
; NumSgprs: 32
; NumVgprs: 34
; NumAgprs: 0
; TotalNumVgprs: 34
; ScratchSize: 0
; MemoryBound: 0
; FloatMode: 240
; IeeeMode: 1
; LDSByteSize: 0 bytes/workgroup (compile time only)
; SGPRBlocks: 3
; VGPRBlocks: 4
; NumSGPRsForWavesPerEU: 32
; NumVGPRsForWavesPerEU: 34
; AccumOffset: 36
; Occupancy: 8
; WaveLimiterHint : 0
; COMPUTE_PGM_RSRC2:SCRATCH_EN: 0
; COMPUTE_PGM_RSRC2:USER_SGPR: 6
; COMPUTE_PGM_RSRC2:TRAP_HANDLER: 0
; COMPUTE_PGM_RSRC2:TGID_X_EN: 1
; COMPUTE_PGM_RSRC2:TGID_Y_EN: 0
; COMPUTE_PGM_RSRC2:TGID_Z_EN: 0
; COMPUTE_PGM_RSRC2:TIDIG_COMP_CNT: 0
; COMPUTE_PGM_RSRC3_GFX90A:ACCUM_OFFSET: 8
; COMPUTE_PGM_RSRC3_GFX90A:TG_SPLIT: 0
	.section	.text._ZN2at6native12_GLOBAL__N_125multi_tensor_apply_kernelINS1_18TensorListMetadataILi2EEENS1_27BinaryOpScalarTensorFunctorIlLi2ELi1ELi1EEEJSt7dividesIlEPllEEEvT_T0_DpT1_,"axG",@progbits,_ZN2at6native12_GLOBAL__N_125multi_tensor_apply_kernelINS1_18TensorListMetadataILi2EEENS1_27BinaryOpScalarTensorFunctorIlLi2ELi1ELi1EEEJSt7dividesIlEPllEEEvT_T0_DpT1_,comdat
	.globl	_ZN2at6native12_GLOBAL__N_125multi_tensor_apply_kernelINS1_18TensorListMetadataILi2EEENS1_27BinaryOpScalarTensorFunctorIlLi2ELi1ELi1EEEJSt7dividesIlEPllEEEvT_T0_DpT1_ ; -- Begin function _ZN2at6native12_GLOBAL__N_125multi_tensor_apply_kernelINS1_18TensorListMetadataILi2EEENS1_27BinaryOpScalarTensorFunctorIlLi2ELi1ELi1EEEJSt7dividesIlEPllEEEvT_T0_DpT1_
	.p2align	8
	.type	_ZN2at6native12_GLOBAL__N_125multi_tensor_apply_kernelINS1_18TensorListMetadataILi2EEENS1_27BinaryOpScalarTensorFunctorIlLi2ELi1ELi1EEEJSt7dividesIlEPllEEEvT_T0_DpT1_,@function
_ZN2at6native12_GLOBAL__N_125multi_tensor_apply_kernelINS1_18TensorListMetadataILi2EEENS1_27BinaryOpScalarTensorFunctorIlLi2ELi1ELi1EEEJSt7dividesIlEPllEEEvT_T0_DpT1_: ; @_ZN2at6native12_GLOBAL__N_125multi_tensor_apply_kernelINS1_18TensorListMetadataILi2EEENS1_27BinaryOpScalarTensorFunctorIlLi2ELi1ELi1EEEJSt7dividesIlEPllEEEvT_T0_DpT1_
; %bb.0:
	v_mov_b32_e32 v1, s6
	global_load_ubyte v1, v1, s[4:5] offset:1536
	s_add_u32 s0, s4, s6
	s_mul_hi_u32 s3, s6, 3
	s_mul_i32 s6, s6, 3
	s_addc_u32 s7, s5, 0
	s_add_u32 s2, s0, s6
	s_addc_u32 s3, s7, s3
	s_load_dword s16, s[2:3], 0x740
	s_load_dwordx4 s[12:15], s[4:5], 0xc50
	s_mov_b32 s9, 0
	s_mov_b32 s19, s9
	;; [unrolled: 1-line block ×3, first 2 shown]
	s_waitcnt lgkmcnt(0)
	s_ashr_i32 s17, s16, 31
	s_lshl_b64 s[10:11], s[16:17], 19
	s_waitcnt vmcnt(0)
	v_readfirstlane_b32 s0, v1
	s_lshl_b32 s0, s0, 3
	s_load_dwordx2 s[6:7], s[4:5], s0 offset:0x0
	s_load_dwordx2 s[20:21], s[4:5], s0 offset:0x400
	;; [unrolled: 1-line block ×3, first 2 shown]
	s_waitcnt lgkmcnt(0)
	s_add_u32 s30, s6, s10
	s_addc_u32 s31, s7, s11
	s_and_b32 s8, s30, 31
	s_add_u32 s33, s2, s10
	s_addc_u32 s34, s3, s11
	s_and_b32 s18, s20, 3
	s_and_b32 s0, s33, 31
	s_or_b64 s[18:19], s[8:9], s[18:19]
	s_or_b64 s[0:1], s[0:1], s[18:19]
	s_lshl_b64 s[16:17], s[16:17], 16
	s_sub_u32 s16, s20, s16
	s_subb_u32 s17, s21, s17
	s_cmp_eq_u64 s[0:1], 0
	s_mov_b64 s[0:1], -1
	s_cbranch_scc0 .LBB63_21
; %bb.1:
	v_mov_b32_e32 v14, 0
	v_lshlrev_b32_e32 v2, 2, v0
	v_mov_b32_e32 v3, v14
	v_cmp_gt_i64_e32 vcc, s[16:17], v[2:3]
	s_and_saveexec_b64 s[18:19], vcc
	s_cbranch_execz .LBB63_20
; %bb.2:
	s_load_dword s0, s[4:5], 0xc6c
	v_mov_b32_e32 v17, v14
	v_lshlrev_b32_e32 v18, 5, v0
	s_mov_b64 s[20:21], 0
	s_mov_b64 s[22:23], 0xffff
	s_waitcnt lgkmcnt(0)
	s_and_b32 s0, s0, 0xffff
	v_add_lshl_u32 v16, v0, s0, 2
	s_lshl_b32 s8, s0, 2
	s_lshl_b32 s35, s0, 5
	s_branch .LBB63_4
.LBB63_3:                               ;   in Loop: Header=BB63_4 Depth=1
	s_or_b64 exec, exec, s[0:1]
	v_mov_b32_e32 v1, s34
	v_add_co_u32_e32 v2, vcc, s33, v18
	v_addc_co_u32_e32 v3, vcc, 0, v1, vcc
	v_cmp_le_i64_e32 vcc, s[16:17], v[16:17]
	v_cmp_lt_u64_e64 s[0:1], s[22:23], v[16:17]
	s_or_b64 s[0:1], vcc, s[0:1]
	s_add_u32 s30, s30, s35
	s_addc_u32 s31, s31, 0
	s_add_u32 s33, s33, s35
	s_addc_u32 s34, s34, 0
	v_mov_b32_e32 v1, s9
	s_and_b64 s[0:1], exec, s[0:1]
	v_add_co_u32_e32 v16, vcc, s8, v16
	s_or_b64 s[20:21], s[0:1], s[20:21]
	v_addc_co_u32_e32 v17, vcc, v17, v1, vcc
	global_store_dwordx4 v[2:3], v[6:9], off
	global_store_dwordx4 v[2:3], v[10:13], off offset:16
	s_andn2_b64 exec, exec, s[20:21]
	s_cbranch_execz .LBB63_20
.LBB63_4:                               ; =>This Inner Loop Header: Depth=1
	global_load_dwordx2 v[6:7], v14, s[12:13]
	v_mov_b32_e32 v1, s31
	v_add_co_u32_e32 v12, vcc, s30, v18
	v_addc_co_u32_e32 v13, vcc, 0, v1, vcc
	global_load_dwordx4 v[8:11], v[12:13], off
	global_load_dwordx4 v[2:5], v[12:13], off offset:16
	s_waitcnt vmcnt(2)
	v_readfirstlane_b32 s1, v6
	v_readfirstlane_b32 s0, v7
	s_mul_i32 s24, s1, s15
	s_mul_hi_u32 s25, s1, s14
	s_mul_i32 s0, s0, s14
	s_add_i32 s24, s25, s24
	s_add_i32 s37, s24, s0
	s_waitcnt vmcnt(1)
	v_or_b32_e32 v15, s37, v9
	s_mul_i32 s36, s1, s14
	v_cmp_ne_u64_e32 vcc, 0, v[14:15]
                                        ; implicit-def: $vgpr6_vgpr7
	s_and_saveexec_b64 s[0:1], vcc
	s_xor_b64 s[24:25], exec, s[0:1]
	s_cbranch_execz .LBB63_6
; %bb.5:                                ;   in Loop: Header=BB63_4 Depth=1
	s_ashr_i32 s26, s37, 31
	s_add_u32 s0, s36, s26
	s_mov_b32 s27, s26
	s_addc_u32 s1, s37, s26
	s_xor_b64 s[28:29], s[0:1], s[26:27]
	v_cvt_f32_u32_e32 v1, s28
	v_cvt_f32_u32_e32 v6, s29
	s_sub_u32 s0, 0, s28
	s_subb_u32 s1, 0, s29
	v_mac_f32_e32 v1, 0x4f800000, v6
	v_rcp_f32_e32 v1, v1
	v_mul_f32_e32 v1, 0x5f7ffffc, v1
	v_mul_f32_e32 v6, 0x2f800000, v1
	v_trunc_f32_e32 v6, v6
	v_mac_f32_e32 v1, 0xcf800000, v6
	v_cvt_u32_f32_e32 v6, v6
	v_cvt_u32_f32_e32 v1, v1
	v_mul_lo_u32 v7, s0, v6
	v_mul_hi_u32 v13, s0, v1
	v_mul_lo_u32 v12, s1, v1
	v_add_u32_e32 v7, v13, v7
	v_mul_lo_u32 v15, s0, v1
	v_add_u32_e32 v7, v7, v12
	v_mul_lo_u32 v13, v1, v7
	v_mul_hi_u32 v19, v1, v15
	v_mul_hi_u32 v12, v1, v7
	v_add_co_u32_e32 v13, vcc, v19, v13
	v_addc_co_u32_e32 v12, vcc, 0, v12, vcc
	v_mul_hi_u32 v20, v6, v15
	v_mul_lo_u32 v15, v6, v15
	v_add_co_u32_e32 v13, vcc, v13, v15
	v_mul_hi_u32 v19, v6, v7
	v_addc_co_u32_e32 v12, vcc, v12, v20, vcc
	v_addc_co_u32_e32 v13, vcc, 0, v19, vcc
	v_mul_lo_u32 v7, v6, v7
	v_add_co_u32_e32 v7, vcc, v12, v7
	v_addc_co_u32_e32 v12, vcc, 0, v13, vcc
	v_add_co_u32_e32 v1, vcc, v1, v7
	v_addc_co_u32_e32 v6, vcc, v6, v12, vcc
	v_mul_lo_u32 v7, s0, v6
	v_mul_hi_u32 v12, s0, v1
	v_add_u32_e32 v7, v12, v7
	v_mul_lo_u32 v12, s1, v1
	v_add_u32_e32 v7, v7, v12
	v_mul_lo_u32 v13, s0, v1
	v_mul_hi_u32 v15, v6, v13
	v_mul_lo_u32 v19, v6, v13
	v_mul_lo_u32 v21, v1, v7
	v_mul_hi_u32 v13, v1, v13
	v_mul_hi_u32 v20, v1, v7
	v_add_co_u32_e32 v13, vcc, v13, v21
	v_addc_co_u32_e32 v20, vcc, 0, v20, vcc
	v_add_co_u32_e32 v13, vcc, v13, v19
	v_mul_hi_u32 v12, v6, v7
	v_addc_co_u32_e32 v13, vcc, v20, v15, vcc
	v_addc_co_u32_e32 v12, vcc, 0, v12, vcc
	v_mul_lo_u32 v7, v6, v7
	v_add_co_u32_e32 v7, vcc, v13, v7
	v_addc_co_u32_e32 v12, vcc, 0, v12, vcc
	v_add_co_u32_e32 v1, vcc, v1, v7
	v_addc_co_u32_e32 v12, vcc, v6, v12, vcc
	v_ashrrev_i32_e32 v15, 31, v9
	v_add_co_u32_e32 v6, vcc, v8, v15
	v_addc_co_u32_e32 v7, vcc, v9, v15, vcc
	v_xor_b32_e32 v19, v6, v15
	v_xor_b32_e32 v9, v7, v15
	v_mad_u64_u32 v[6:7], s[0:1], v19, v12, 0
	v_mul_hi_u32 v13, v19, v1
	v_add_co_u32_e32 v20, vcc, v13, v6
	v_addc_co_u32_e32 v21, vcc, 0, v7, vcc
	v_mad_u64_u32 v[6:7], s[0:1], v9, v12, 0
	v_mad_u64_u32 v[12:13], s[0:1], v9, v1, 0
	v_add_co_u32_e32 v1, vcc, v20, v12
	v_addc_co_u32_e32 v1, vcc, v21, v13, vcc
	v_addc_co_u32_e32 v7, vcc, 0, v7, vcc
	v_add_co_u32_e32 v1, vcc, v1, v6
	v_addc_co_u32_e32 v12, vcc, 0, v7, vcc
	v_mul_lo_u32 v13, s29, v1
	v_mul_lo_u32 v20, s28, v12
	v_mad_u64_u32 v[6:7], s[0:1], s28, v1, 0
	v_add3_u32 v7, v7, v20, v13
	v_sub_u32_e32 v13, v9, v7
	v_mov_b32_e32 v20, s29
	v_sub_co_u32_e32 v6, vcc, v19, v6
	v_subb_co_u32_e64 v13, s[0:1], v13, v20, vcc
	v_subrev_co_u32_e64 v19, s[0:1], s28, v6
	v_subbrev_co_u32_e64 v13, s[0:1], 0, v13, s[0:1]
	v_cmp_le_u32_e64 s[0:1], s29, v13
	v_cndmask_b32_e64 v20, 0, -1, s[0:1]
	v_cmp_le_u32_e64 s[0:1], s28, v19
	v_cndmask_b32_e64 v19, 0, -1, s[0:1]
	v_cmp_eq_u32_e64 s[0:1], s29, v13
	v_cndmask_b32_e64 v13, v20, v19, s[0:1]
	v_add_co_u32_e64 v19, s[0:1], 2, v1
	v_subb_co_u32_e32 v7, vcc, v9, v7, vcc
	v_addc_co_u32_e64 v20, s[0:1], 0, v12, s[0:1]
	v_cmp_le_u32_e32 vcc, s29, v7
	v_add_co_u32_e64 v21, s[0:1], 1, v1
	v_cndmask_b32_e64 v9, 0, -1, vcc
	v_cmp_le_u32_e32 vcc, s28, v6
	v_addc_co_u32_e64 v22, s[0:1], 0, v12, s[0:1]
	v_cndmask_b32_e64 v6, 0, -1, vcc
	v_cmp_eq_u32_e32 vcc, s29, v7
	v_cmp_ne_u32_e64 s[0:1], 0, v13
	v_cndmask_b32_e32 v6, v9, v6, vcc
	v_cmp_ne_u32_e32 vcc, 0, v6
	v_cndmask_b32_e64 v7, v21, v19, s[0:1]
	v_cndmask_b32_e64 v13, v22, v20, s[0:1]
	v_cndmask_b32_e32 v1, v1, v7, vcc
	v_xor_b32_e32 v7, s26, v15
	v_cndmask_b32_e32 v6, v12, v13, vcc
	v_xor_b32_e32 v1, v1, v7
	v_xor_b32_e32 v9, v6, v7
	v_sub_co_u32_e32 v6, vcc, v1, v7
	v_subb_co_u32_e32 v7, vcc, v9, v7, vcc
.LBB63_6:                               ;   in Loop: Header=BB63_4 Depth=1
	s_andn2_saveexec_b64 s[0:1], s[24:25]
	s_cbranch_execz .LBB63_8
; %bb.7:                                ;   in Loop: Header=BB63_4 Depth=1
	v_cvt_f32_u32_e32 v1, s36
	s_sub_i32 s24, 0, s36
	v_rcp_iflag_f32_e32 v1, v1
	v_mul_f32_e32 v1, 0x4f7ffffe, v1
	v_cvt_u32_f32_e32 v1, v1
	v_mul_lo_u32 v6, s24, v1
	v_mul_hi_u32 v6, v1, v6
	v_add_u32_e32 v1, v1, v6
	v_mul_hi_u32 v1, v8, v1
	v_mul_lo_u32 v6, v1, s36
	v_sub_u32_e32 v6, v8, v6
	v_add_u32_e32 v7, 1, v1
	v_subrev_u32_e32 v8, s36, v6
	v_cmp_le_u32_e32 vcc, s36, v6
	v_cndmask_b32_e32 v6, v6, v8, vcc
	v_cndmask_b32_e32 v1, v1, v7, vcc
	v_add_u32_e32 v7, 1, v1
	v_cmp_le_u32_e32 vcc, s36, v6
	v_cndmask_b32_e32 v6, v1, v7, vcc
	v_mov_b32_e32 v7, v14
.LBB63_8:                               ;   in Loop: Header=BB63_4 Depth=1
	s_or_b64 exec, exec, s[0:1]
	v_or_b32_e32 v15, s37, v11
	v_cmp_ne_u64_e32 vcc, 0, v[14:15]
	s_and_saveexec_b64 s[0:1], vcc
	s_xor_b64 s[24:25], exec, s[0:1]
	s_cbranch_execz .LBB63_10
; %bb.9:                                ;   in Loop: Header=BB63_4 Depth=1
	s_ashr_i32 s26, s37, 31
	s_add_u32 s0, s36, s26
	s_mov_b32 s27, s26
	s_addc_u32 s1, s37, s26
	s_xor_b64 s[28:29], s[0:1], s[26:27]
	v_cvt_f32_u32_e32 v1, s28
	v_cvt_f32_u32_e32 v8, s29
	s_sub_u32 s0, 0, s28
	s_subb_u32 s1, 0, s29
	v_mac_f32_e32 v1, 0x4f800000, v8
	v_rcp_f32_e32 v1, v1
	v_mul_f32_e32 v1, 0x5f7ffffc, v1
	v_mul_f32_e32 v8, 0x2f800000, v1
	v_trunc_f32_e32 v8, v8
	v_mac_f32_e32 v1, 0xcf800000, v8
	v_cvt_u32_f32_e32 v8, v8
	v_cvt_u32_f32_e32 v1, v1
	v_mul_lo_u32 v9, s0, v8
	v_mul_hi_u32 v13, s0, v1
	v_mul_lo_u32 v12, s1, v1
	v_add_u32_e32 v9, v13, v9
	v_mul_lo_u32 v15, s0, v1
	v_add_u32_e32 v9, v9, v12
	v_mul_lo_u32 v13, v1, v9
	v_mul_hi_u32 v19, v1, v15
	v_mul_hi_u32 v12, v1, v9
	v_add_co_u32_e32 v13, vcc, v19, v13
	v_addc_co_u32_e32 v12, vcc, 0, v12, vcc
	v_mul_hi_u32 v20, v8, v15
	v_mul_lo_u32 v15, v8, v15
	v_add_co_u32_e32 v13, vcc, v13, v15
	v_mul_hi_u32 v19, v8, v9
	v_addc_co_u32_e32 v12, vcc, v12, v20, vcc
	v_addc_co_u32_e32 v13, vcc, 0, v19, vcc
	v_mul_lo_u32 v9, v8, v9
	v_add_co_u32_e32 v9, vcc, v12, v9
	v_addc_co_u32_e32 v12, vcc, 0, v13, vcc
	v_add_co_u32_e32 v1, vcc, v1, v9
	v_addc_co_u32_e32 v8, vcc, v8, v12, vcc
	v_mul_lo_u32 v9, s0, v8
	v_mul_hi_u32 v12, s0, v1
	v_add_u32_e32 v9, v12, v9
	v_mul_lo_u32 v12, s1, v1
	v_add_u32_e32 v9, v9, v12
	v_mul_lo_u32 v13, s0, v1
	v_mul_hi_u32 v15, v8, v13
	v_mul_lo_u32 v19, v8, v13
	v_mul_lo_u32 v21, v1, v9
	v_mul_hi_u32 v13, v1, v13
	v_mul_hi_u32 v20, v1, v9
	v_add_co_u32_e32 v13, vcc, v13, v21
	v_addc_co_u32_e32 v20, vcc, 0, v20, vcc
	v_add_co_u32_e32 v13, vcc, v13, v19
	v_mul_hi_u32 v12, v8, v9
	v_addc_co_u32_e32 v13, vcc, v20, v15, vcc
	v_addc_co_u32_e32 v12, vcc, 0, v12, vcc
	v_mul_lo_u32 v9, v8, v9
	v_add_co_u32_e32 v9, vcc, v13, v9
	v_addc_co_u32_e32 v12, vcc, 0, v12, vcc
	v_add_co_u32_e32 v1, vcc, v1, v9
	v_addc_co_u32_e32 v12, vcc, v8, v12, vcc
	v_ashrrev_i32_e32 v13, 31, v11
	v_add_co_u32_e32 v8, vcc, v10, v13
	v_addc_co_u32_e32 v9, vcc, v11, v13, vcc
	v_xor_b32_e32 v19, v8, v13
	v_xor_b32_e32 v15, v9, v13
	v_mad_u64_u32 v[8:9], s[0:1], v19, v12, 0
	v_mul_hi_u32 v10, v19, v1
	v_add_co_u32_e32 v20, vcc, v10, v8
	v_addc_co_u32_e32 v21, vcc, 0, v9, vcc
	v_mad_u64_u32 v[10:11], s[0:1], v15, v1, 0
	v_add_co_u32_e32 v1, vcc, v20, v10
	v_mad_u64_u32 v[8:9], s[0:1], v15, v12, 0
	v_addc_co_u32_e32 v1, vcc, v21, v11, vcc
	v_addc_co_u32_e32 v9, vcc, 0, v9, vcc
	v_add_co_u32_e32 v1, vcc, v1, v8
	v_addc_co_u32_e32 v10, vcc, 0, v9, vcc
	v_mul_lo_u32 v11, s29, v1
	v_mul_lo_u32 v12, s28, v10
	v_mad_u64_u32 v[8:9], s[0:1], s28, v1, 0
	v_add3_u32 v9, v9, v12, v11
	v_sub_u32_e32 v11, v15, v9
	v_mov_b32_e32 v12, s29
	v_sub_co_u32_e32 v8, vcc, v19, v8
	v_subb_co_u32_e64 v11, s[0:1], v11, v12, vcc
	v_subrev_co_u32_e64 v12, s[0:1], s28, v8
	v_subbrev_co_u32_e64 v11, s[0:1], 0, v11, s[0:1]
	v_cmp_le_u32_e64 s[0:1], s29, v11
	v_cndmask_b32_e64 v19, 0, -1, s[0:1]
	v_cmp_le_u32_e64 s[0:1], s28, v12
	v_cndmask_b32_e64 v12, 0, -1, s[0:1]
	v_cmp_eq_u32_e64 s[0:1], s29, v11
	v_cndmask_b32_e64 v11, v19, v12, s[0:1]
	v_add_co_u32_e64 v12, s[0:1], 2, v1
	v_subb_co_u32_e32 v9, vcc, v15, v9, vcc
	v_addc_co_u32_e64 v19, s[0:1], 0, v10, s[0:1]
	v_cmp_le_u32_e32 vcc, s29, v9
	v_add_co_u32_e64 v20, s[0:1], 1, v1
	v_cndmask_b32_e64 v15, 0, -1, vcc
	v_cmp_le_u32_e32 vcc, s28, v8
	v_addc_co_u32_e64 v21, s[0:1], 0, v10, s[0:1]
	v_cndmask_b32_e64 v8, 0, -1, vcc
	v_cmp_eq_u32_e32 vcc, s29, v9
	v_cmp_ne_u32_e64 s[0:1], 0, v11
	v_cndmask_b32_e32 v8, v15, v8, vcc
	v_cmp_ne_u32_e32 vcc, 0, v8
	v_cndmask_b32_e64 v9, v20, v12, s[0:1]
	v_cndmask_b32_e64 v11, v21, v19, s[0:1]
	v_cndmask_b32_e32 v1, v1, v9, vcc
	v_xor_b32_e32 v9, s26, v13
	v_cndmask_b32_e32 v8, v10, v11, vcc
	v_xor_b32_e32 v1, v1, v9
	v_xor_b32_e32 v10, v8, v9
	v_sub_co_u32_e32 v8, vcc, v1, v9
	v_subb_co_u32_e32 v9, vcc, v10, v9, vcc
                                        ; implicit-def: $vgpr10_vgpr11
.LBB63_10:                              ;   in Loop: Header=BB63_4 Depth=1
	s_andn2_saveexec_b64 s[0:1], s[24:25]
	s_cbranch_execz .LBB63_12
; %bb.11:                               ;   in Loop: Header=BB63_4 Depth=1
	v_cvt_f32_u32_e32 v1, s36
	s_sub_i32 s24, 0, s36
	v_rcp_iflag_f32_e32 v1, v1
	v_mul_f32_e32 v1, 0x4f7ffffe, v1
	v_cvt_u32_f32_e32 v1, v1
	v_mul_lo_u32 v8, s24, v1
	v_mul_hi_u32 v8, v1, v8
	v_add_u32_e32 v1, v1, v8
	v_mul_hi_u32 v1, v10, v1
	v_mul_lo_u32 v8, v1, s36
	v_sub_u32_e32 v8, v10, v8
	v_add_u32_e32 v9, 1, v1
	v_subrev_u32_e32 v10, s36, v8
	v_cmp_le_u32_e32 vcc, s36, v8
	v_cndmask_b32_e32 v8, v8, v10, vcc
	v_cndmask_b32_e32 v1, v1, v9, vcc
	v_add_u32_e32 v9, 1, v1
	v_cmp_le_u32_e32 vcc, s36, v8
	v_cndmask_b32_e32 v8, v1, v9, vcc
	v_mov_b32_e32 v9, v14
.LBB63_12:                              ;   in Loop: Header=BB63_4 Depth=1
	s_or_b64 exec, exec, s[0:1]
	s_waitcnt vmcnt(0)
	v_or_b32_e32 v15, s37, v3
	v_cmp_ne_u64_e32 vcc, 0, v[14:15]
                                        ; implicit-def: $vgpr10_vgpr11
	s_and_saveexec_b64 s[0:1], vcc
	s_xor_b64 s[24:25], exec, s[0:1]
	s_cbranch_execz .LBB63_14
; %bb.13:                               ;   in Loop: Header=BB63_4 Depth=1
	s_ashr_i32 s26, s37, 31
	s_add_u32 s0, s36, s26
	s_mov_b32 s27, s26
	s_addc_u32 s1, s37, s26
	s_xor_b64 s[28:29], s[0:1], s[26:27]
	v_cvt_f32_u32_e32 v1, s28
	v_cvt_f32_u32_e32 v10, s29
	s_sub_u32 s0, 0, s28
	s_subb_u32 s1, 0, s29
	v_mac_f32_e32 v1, 0x4f800000, v10
	v_rcp_f32_e32 v1, v1
	v_mul_f32_e32 v1, 0x5f7ffffc, v1
	v_mul_f32_e32 v10, 0x2f800000, v1
	v_trunc_f32_e32 v10, v10
	v_mac_f32_e32 v1, 0xcf800000, v10
	v_cvt_u32_f32_e32 v10, v10
	v_cvt_u32_f32_e32 v1, v1
	v_mul_lo_u32 v11, s0, v10
	v_mul_hi_u32 v13, s0, v1
	v_mul_lo_u32 v12, s1, v1
	v_add_u32_e32 v11, v13, v11
	v_mul_lo_u32 v15, s0, v1
	v_add_u32_e32 v11, v11, v12
	v_mul_lo_u32 v13, v1, v11
	v_mul_hi_u32 v19, v1, v15
	v_mul_hi_u32 v12, v1, v11
	v_add_co_u32_e32 v13, vcc, v19, v13
	v_addc_co_u32_e32 v12, vcc, 0, v12, vcc
	v_mul_hi_u32 v20, v10, v15
	v_mul_lo_u32 v15, v10, v15
	v_add_co_u32_e32 v13, vcc, v13, v15
	v_mul_hi_u32 v19, v10, v11
	v_addc_co_u32_e32 v12, vcc, v12, v20, vcc
	v_addc_co_u32_e32 v13, vcc, 0, v19, vcc
	v_mul_lo_u32 v11, v10, v11
	v_add_co_u32_e32 v11, vcc, v12, v11
	v_addc_co_u32_e32 v12, vcc, 0, v13, vcc
	v_add_co_u32_e32 v1, vcc, v1, v11
	v_addc_co_u32_e32 v10, vcc, v10, v12, vcc
	v_mul_lo_u32 v11, s0, v10
	v_mul_hi_u32 v12, s0, v1
	v_add_u32_e32 v11, v12, v11
	v_mul_lo_u32 v12, s1, v1
	v_add_u32_e32 v11, v11, v12
	v_mul_lo_u32 v13, s0, v1
	v_mul_hi_u32 v15, v10, v13
	v_mul_lo_u32 v19, v10, v13
	v_mul_lo_u32 v21, v1, v11
	v_mul_hi_u32 v13, v1, v13
	v_mul_hi_u32 v20, v1, v11
	v_add_co_u32_e32 v13, vcc, v13, v21
	v_addc_co_u32_e32 v20, vcc, 0, v20, vcc
	v_add_co_u32_e32 v13, vcc, v13, v19
	v_mul_hi_u32 v12, v10, v11
	v_addc_co_u32_e32 v13, vcc, v20, v15, vcc
	v_addc_co_u32_e32 v12, vcc, 0, v12, vcc
	v_mul_lo_u32 v11, v10, v11
	v_add_co_u32_e32 v11, vcc, v13, v11
	v_addc_co_u32_e32 v12, vcc, 0, v12, vcc
	v_add_co_u32_e32 v1, vcc, v1, v11
	v_addc_co_u32_e32 v12, vcc, v10, v12, vcc
	v_ashrrev_i32_e32 v15, 31, v3
	v_add_co_u32_e32 v10, vcc, v2, v15
	v_xor_b32_e32 v19, v10, v15
	v_addc_co_u32_e32 v3, vcc, v3, v15, vcc
	v_mad_u64_u32 v[10:11], s[0:1], v19, v12, 0
	v_mul_hi_u32 v13, v19, v1
	v_xor_b32_e32 v3, v3, v15
	v_add_co_u32_e32 v20, vcc, v13, v10
	v_addc_co_u32_e32 v21, vcc, 0, v11, vcc
	v_mad_u64_u32 v[10:11], s[0:1], v3, v12, 0
	v_mad_u64_u32 v[12:13], s[0:1], v3, v1, 0
	v_add_co_u32_e32 v1, vcc, v20, v12
	v_addc_co_u32_e32 v1, vcc, v21, v13, vcc
	v_addc_co_u32_e32 v11, vcc, 0, v11, vcc
	v_add_co_u32_e32 v1, vcc, v1, v10
	v_addc_co_u32_e32 v12, vcc, 0, v11, vcc
	v_mul_lo_u32 v13, s29, v1
	v_mul_lo_u32 v20, s28, v12
	v_mad_u64_u32 v[10:11], s[0:1], s28, v1, 0
	v_add3_u32 v11, v11, v20, v13
	v_sub_u32_e32 v13, v3, v11
	v_mov_b32_e32 v20, s29
	v_sub_co_u32_e32 v10, vcc, v19, v10
	v_subb_co_u32_e64 v13, s[0:1], v13, v20, vcc
	v_subrev_co_u32_e64 v19, s[0:1], s28, v10
	v_subbrev_co_u32_e64 v13, s[0:1], 0, v13, s[0:1]
	v_cmp_le_u32_e64 s[0:1], s29, v13
	v_cndmask_b32_e64 v20, 0, -1, s[0:1]
	v_cmp_le_u32_e64 s[0:1], s28, v19
	v_cndmask_b32_e64 v19, 0, -1, s[0:1]
	v_cmp_eq_u32_e64 s[0:1], s29, v13
	v_cndmask_b32_e64 v13, v20, v19, s[0:1]
	v_add_co_u32_e64 v19, s[0:1], 2, v1
	v_subb_co_u32_e32 v3, vcc, v3, v11, vcc
	v_addc_co_u32_e64 v20, s[0:1], 0, v12, s[0:1]
	v_cmp_le_u32_e32 vcc, s29, v3
	v_add_co_u32_e64 v21, s[0:1], 1, v1
	v_cndmask_b32_e64 v11, 0, -1, vcc
	v_cmp_le_u32_e32 vcc, s28, v10
	v_addc_co_u32_e64 v22, s[0:1], 0, v12, s[0:1]
	v_cndmask_b32_e64 v10, 0, -1, vcc
	v_cmp_eq_u32_e32 vcc, s29, v3
	v_cmp_ne_u32_e64 s[0:1], 0, v13
	v_cndmask_b32_e32 v3, v11, v10, vcc
	v_cmp_ne_u32_e32 vcc, 0, v3
	v_cndmask_b32_e64 v10, v21, v19, s[0:1]
	v_cndmask_b32_e64 v13, v22, v20, s[0:1]
	v_cndmask_b32_e32 v1, v1, v10, vcc
	v_xor_b32_e32 v11, s26, v15
	v_cndmask_b32_e32 v3, v12, v13, vcc
	v_xor_b32_e32 v1, v1, v11
	v_xor_b32_e32 v3, v3, v11
	v_sub_co_u32_e32 v10, vcc, v1, v11
	v_subb_co_u32_e32 v11, vcc, v3, v11, vcc
.LBB63_14:                              ;   in Loop: Header=BB63_4 Depth=1
	s_andn2_saveexec_b64 s[0:1], s[24:25]
	s_cbranch_execz .LBB63_16
; %bb.15:                               ;   in Loop: Header=BB63_4 Depth=1
	v_cvt_f32_u32_e32 v1, s36
	s_sub_i32 s24, 0, s36
	v_mov_b32_e32 v11, v14
	v_rcp_iflag_f32_e32 v1, v1
	v_mul_f32_e32 v1, 0x4f7ffffe, v1
	v_cvt_u32_f32_e32 v1, v1
	v_mul_lo_u32 v3, s24, v1
	v_mul_hi_u32 v3, v1, v3
	v_add_u32_e32 v1, v1, v3
	v_mul_hi_u32 v1, v2, v1
	v_mul_lo_u32 v3, v1, s36
	v_sub_u32_e32 v2, v2, v3
	v_add_u32_e32 v10, 1, v1
	v_subrev_u32_e32 v3, s36, v2
	v_cmp_le_u32_e32 vcc, s36, v2
	v_cndmask_b32_e32 v2, v2, v3, vcc
	v_cndmask_b32_e32 v1, v1, v10, vcc
	v_add_u32_e32 v3, 1, v1
	v_cmp_le_u32_e32 vcc, s36, v2
	v_cndmask_b32_e32 v10, v1, v3, vcc
.LBB63_16:                              ;   in Loop: Header=BB63_4 Depth=1
	s_or_b64 exec, exec, s[0:1]
	v_or_b32_e32 v15, s37, v5
	v_cmp_ne_u64_e32 vcc, 0, v[14:15]
	s_and_saveexec_b64 s[0:1], vcc
	s_xor_b64 s[24:25], exec, s[0:1]
	s_cbranch_execz .LBB63_18
; %bb.17:                               ;   in Loop: Header=BB63_4 Depth=1
	s_ashr_i32 s26, s37, 31
	s_add_u32 s0, s36, s26
	s_mov_b32 s27, s26
	s_addc_u32 s1, s37, s26
	s_xor_b64 s[28:29], s[0:1], s[26:27]
	v_cvt_f32_u32_e32 v1, s28
	v_cvt_f32_u32_e32 v2, s29
	s_sub_u32 s0, 0, s28
	s_subb_u32 s1, 0, s29
	v_mac_f32_e32 v1, 0x4f800000, v2
	v_rcp_f32_e32 v1, v1
	v_mul_f32_e32 v1, 0x5f7ffffc, v1
	v_mul_f32_e32 v2, 0x2f800000, v1
	v_trunc_f32_e32 v2, v2
	v_mac_f32_e32 v1, 0xcf800000, v2
	v_cvt_u32_f32_e32 v2, v2
	v_cvt_u32_f32_e32 v1, v1
	v_mul_lo_u32 v3, s0, v2
	v_mul_hi_u32 v13, s0, v1
	v_mul_lo_u32 v12, s1, v1
	v_add_u32_e32 v3, v13, v3
	v_mul_lo_u32 v15, s0, v1
	v_add_u32_e32 v3, v3, v12
	v_mul_lo_u32 v13, v1, v3
	v_mul_hi_u32 v19, v1, v15
	v_mul_hi_u32 v12, v1, v3
	v_add_co_u32_e32 v13, vcc, v19, v13
	v_addc_co_u32_e32 v12, vcc, 0, v12, vcc
	v_mul_hi_u32 v20, v2, v15
	v_mul_lo_u32 v15, v2, v15
	v_add_co_u32_e32 v13, vcc, v13, v15
	v_mul_hi_u32 v19, v2, v3
	v_addc_co_u32_e32 v12, vcc, v12, v20, vcc
	v_addc_co_u32_e32 v13, vcc, 0, v19, vcc
	v_mul_lo_u32 v3, v2, v3
	v_add_co_u32_e32 v3, vcc, v12, v3
	v_addc_co_u32_e32 v12, vcc, 0, v13, vcc
	v_add_co_u32_e32 v1, vcc, v1, v3
	v_addc_co_u32_e32 v2, vcc, v2, v12, vcc
	v_mul_lo_u32 v3, s0, v2
	v_mul_hi_u32 v12, s0, v1
	v_add_u32_e32 v3, v12, v3
	v_mul_lo_u32 v12, s1, v1
	v_add_u32_e32 v3, v3, v12
	v_mul_lo_u32 v13, s0, v1
	v_mul_hi_u32 v15, v2, v13
	v_mul_lo_u32 v19, v2, v13
	v_mul_lo_u32 v21, v1, v3
	v_mul_hi_u32 v13, v1, v13
	v_mul_hi_u32 v20, v1, v3
	v_add_co_u32_e32 v13, vcc, v13, v21
	v_addc_co_u32_e32 v20, vcc, 0, v20, vcc
	v_add_co_u32_e32 v13, vcc, v13, v19
	v_mul_hi_u32 v12, v2, v3
	v_addc_co_u32_e32 v13, vcc, v20, v15, vcc
	v_addc_co_u32_e32 v12, vcc, 0, v12, vcc
	v_mul_lo_u32 v3, v2, v3
	v_add_co_u32_e32 v3, vcc, v13, v3
	v_addc_co_u32_e32 v12, vcc, 0, v12, vcc
	v_add_co_u32_e32 v1, vcc, v1, v3
	v_addc_co_u32_e32 v12, vcc, v2, v12, vcc
	v_ashrrev_i32_e32 v13, 31, v5
	v_add_co_u32_e32 v2, vcc, v4, v13
	v_addc_co_u32_e32 v3, vcc, v5, v13, vcc
	v_xor_b32_e32 v19, v2, v13
	v_xor_b32_e32 v15, v3, v13
	v_mad_u64_u32 v[2:3], s[0:1], v19, v12, 0
	v_mul_hi_u32 v4, v19, v1
	v_add_co_u32_e32 v20, vcc, v4, v2
	v_addc_co_u32_e32 v21, vcc, 0, v3, vcc
	v_mad_u64_u32 v[4:5], s[0:1], v15, v1, 0
	v_add_co_u32_e32 v1, vcc, v20, v4
	v_mad_u64_u32 v[2:3], s[0:1], v15, v12, 0
	v_addc_co_u32_e32 v1, vcc, v21, v5, vcc
	v_addc_co_u32_e32 v3, vcc, 0, v3, vcc
	v_add_co_u32_e32 v1, vcc, v1, v2
	v_addc_co_u32_e32 v4, vcc, 0, v3, vcc
	v_mul_lo_u32 v5, s29, v1
	v_mul_lo_u32 v12, s28, v4
	v_mad_u64_u32 v[2:3], s[0:1], s28, v1, 0
	v_add3_u32 v3, v3, v12, v5
	v_sub_u32_e32 v5, v15, v3
	v_mov_b32_e32 v12, s29
	v_sub_co_u32_e32 v2, vcc, v19, v2
	v_subb_co_u32_e64 v5, s[0:1], v5, v12, vcc
	v_subrev_co_u32_e64 v12, s[0:1], s28, v2
	v_subbrev_co_u32_e64 v5, s[0:1], 0, v5, s[0:1]
	v_cmp_le_u32_e64 s[0:1], s29, v5
	v_cndmask_b32_e64 v19, 0, -1, s[0:1]
	v_cmp_le_u32_e64 s[0:1], s28, v12
	v_cndmask_b32_e64 v12, 0, -1, s[0:1]
	v_cmp_eq_u32_e64 s[0:1], s29, v5
	v_cndmask_b32_e64 v5, v19, v12, s[0:1]
	v_add_co_u32_e64 v12, s[0:1], 2, v1
	v_subb_co_u32_e32 v3, vcc, v15, v3, vcc
	v_addc_co_u32_e64 v19, s[0:1], 0, v4, s[0:1]
	v_cmp_le_u32_e32 vcc, s29, v3
	v_add_co_u32_e64 v20, s[0:1], 1, v1
	v_cndmask_b32_e64 v15, 0, -1, vcc
	v_cmp_le_u32_e32 vcc, s28, v2
	v_addc_co_u32_e64 v21, s[0:1], 0, v4, s[0:1]
	v_cndmask_b32_e64 v2, 0, -1, vcc
	v_cmp_eq_u32_e32 vcc, s29, v3
	v_cmp_ne_u32_e64 s[0:1], 0, v5
	v_cndmask_b32_e32 v2, v15, v2, vcc
	v_cmp_ne_u32_e32 vcc, 0, v2
	v_cndmask_b32_e64 v3, v20, v12, s[0:1]
	v_cndmask_b32_e64 v5, v21, v19, s[0:1]
	v_cndmask_b32_e32 v1, v1, v3, vcc
	v_xor_b32_e32 v3, s26, v13
	v_cndmask_b32_e32 v2, v4, v5, vcc
	v_xor_b32_e32 v1, v1, v3
	v_xor_b32_e32 v2, v2, v3
	v_sub_co_u32_e32 v12, vcc, v1, v3
	v_subb_co_u32_e32 v13, vcc, v2, v3, vcc
                                        ; implicit-def: $vgpr4_vgpr5
.LBB63_18:                              ;   in Loop: Header=BB63_4 Depth=1
	s_andn2_saveexec_b64 s[0:1], s[24:25]
	s_cbranch_execz .LBB63_3
; %bb.19:                               ;   in Loop: Header=BB63_4 Depth=1
	v_cvt_f32_u32_e32 v1, s36
	s_sub_i32 s24, 0, s36
	v_mov_b32_e32 v13, v14
	v_rcp_iflag_f32_e32 v1, v1
	v_mul_f32_e32 v1, 0x4f7ffffe, v1
	v_cvt_u32_f32_e32 v1, v1
	v_mul_lo_u32 v2, s24, v1
	v_mul_hi_u32 v2, v1, v2
	v_add_u32_e32 v1, v1, v2
	v_mul_hi_u32 v1, v4, v1
	v_mul_lo_u32 v2, v1, s36
	v_sub_u32_e32 v2, v4, v2
	v_add_u32_e32 v3, 1, v1
	v_subrev_u32_e32 v4, s36, v2
	v_cmp_le_u32_e32 vcc, s36, v2
	v_cndmask_b32_e32 v2, v2, v4, vcc
	v_cndmask_b32_e32 v1, v1, v3, vcc
	v_add_u32_e32 v3, 1, v1
	v_cmp_le_u32_e32 vcc, s36, v2
	v_cndmask_b32_e32 v12, v1, v3, vcc
	s_branch .LBB63_3
.LBB63_20:
	s_or_b64 exec, exec, s[18:19]
	s_mov_b64 s[0:1], 0
.LBB63_21:
	s_andn2_b64 vcc, exec, s[0:1]
	s_cbranch_vccnz .LBB63_57
; %bb.22:
	v_cmp_lt_i64_e64 s[0:1], s[16:17], 1
	s_and_b64 vcc, exec, s[0:1]
	s_cbranch_vccnz .LBB63_57
; %bb.23:
	s_load_dword s0, s[4:5], 0xc6c
	v_mov_b32_e32 v4, 0x10000
	v_mov_b32_e32 v5, 0
	v_cmp_lt_u64_e32 vcc, s[16:17], v[4:5]
	v_lshlrev_b32_e32 v12, 3, v0
	s_waitcnt lgkmcnt(0)
	s_and_b32 s4, s0, 0xffff
	s_and_b64 s[0:1], vcc, exec
	v_mov_b32_e32 v3, s7
	v_add_co_u32_e32 v4, vcc, s6, v12
	v_mov_b32_e32 v2, 0
	v_addc_co_u32_e32 v1, vcc, 0, v3, vcc
	v_mov_b32_e32 v13, v2
	v_mov_b32_e32 v17, s3
	v_add_co_u32_e32 v6, vcc, s2, v12
	v_addc_co_u32_e32 v5, vcc, 0, v17, vcc
	v_mad_u64_u32 v[10:11], s[0:1], s4, 24, v[12:13]
	v_add_co_u32_e32 v8, vcc, s6, v10
	v_addc_co_u32_e32 v7, vcc, v3, v11, vcc
	v_add_co_u32_e32 v10, vcc, s2, v10
	s_mul_i32 s8, s4, 3
	v_addc_co_u32_e32 v9, vcc, v17, v11, vcc
	v_add_co_u32_e32 v19, vcc, s8, v0
	v_addc_co_u32_e64 v30, s[0:1], 0, 0, vcc
	s_cselect_b32 s19, s17, 0
	s_cselect_b32 s18, s16, 0x10000
	s_lshl_b32 s0, s4, 4
	v_add_co_u32_e32 v13, vcc, s0, v12
	v_addc_co_u32_e64 v15, s[0:1], 0, 0, vcc
	v_add_co_u32_e32 v12, vcc, s6, v13
	v_addc_co_u32_e32 v11, vcc, v3, v15, vcc
	v_add_co_u32_e32 v14, vcc, s2, v13
	s_lshl_b32 s5, s4, 1
	v_addc_co_u32_e32 v13, vcc, v17, v15, vcc
	v_add_co_u32_e32 v31, vcc, s5, v0
	v_addc_co_u32_e64 v32, s[0:1], 0, 0, vcc
	v_add_co_u32_e32 v33, vcc, s4, v0
	v_lshlrev_b32_e32 v18, 3, v33
	v_addc_co_u32_e64 v34, s[0:1], 0, 0, vcc
	v_add_co_u32_e32 v16, vcc, s6, v18
	v_addc_co_u32_e32 v15, vcc, 0, v3, vcc
	v_add_co_u32_e32 v18, vcc, s2, v18
	s_mov_b32 s28, 0
	s_lshl_b32 s29, s4, 2
	s_lshl_b32 s30, s4, 5
	v_addc_co_u32_e32 v17, vcc, 0, v17, vcc
	s_mov_b64 s[20:21], 0
	s_branch .LBB63_25
.LBB63_24:                              ;   in Loop: Header=BB63_25 Depth=1
	s_or_b64 exec, exec, s[0:1]
	s_add_u32 s20, s20, s29
	s_addc_u32 s21, s21, 0
	v_pk_mov_b32 v[20:21], s[16:17], s[16:17] op_sel:[0,1]
	v_cmp_ge_i64_e32 vcc, s[20:21], v[20:21]
	v_mov_b32_e32 v20, 0xffff
	v_mov_b32_e32 v21, 0
	v_cmp_gt_u64_e64 s[0:1], s[20:21], v[20:21]
	s_or_b64 s[0:1], vcc, s[0:1]
	v_mov_b32_e32 v3, s28
	v_add_co_u32_e32 v4, vcc, s30, v4
	v_addc_co_u32_e32 v1, vcc, v1, v3, vcc
	v_add_co_u32_e32 v6, vcc, s30, v6
	v_addc_co_u32_e32 v5, vcc, v5, v3, vcc
	;; [unrolled: 2-line block ×8, first 2 shown]
	s_and_b64 vcc, exec, s[0:1]
	s_cbranch_vccnz .LBB63_57
.LBB63_25:                              ; =>This Inner Loop Header: Depth=1
	v_mov_b32_e32 v3, s21
	v_add_co_u32_e32 v20, vcc, s20, v0
	v_addc_co_u32_e32 v21, vcc, 0, v3, vcc
	v_pk_mov_b32 v[26:27], 0, 0
	v_cmp_gt_u64_e64 s[6:7], s[18:19], v[20:21]
	v_pk_mov_b32 v[20:21], v[26:27], v[26:27] op_sel:[0,1]
	s_and_saveexec_b64 s[0:1], s[6:7]
	s_cbranch_execz .LBB63_27
; %bb.26:                               ;   in Loop: Header=BB63_25 Depth=1
	v_mov_b32_e32 v3, s11
	v_add_co_u32_e32 v20, vcc, s10, v4
	v_addc_co_u32_e32 v21, vcc, v1, v3, vcc
	global_load_dwordx2 v[20:21], v[20:21], off
.LBB63_27:                              ;   in Loop: Header=BB63_25 Depth=1
	s_or_b64 exec, exec, s[0:1]
	v_mov_b32_e32 v3, s21
	v_add_co_u32_e32 v22, vcc, s20, v33
	v_addc_co_u32_e32 v23, vcc, v34, v3, vcc
	v_cmp_gt_u64_e64 s[0:1], s[18:19], v[22:23]
	s_and_saveexec_b64 s[2:3], s[0:1]
	s_cbranch_execz .LBB63_29
; %bb.28:                               ;   in Loop: Header=BB63_25 Depth=1
	v_mov_b32_e32 v3, s11
	v_add_co_u32_e32 v22, vcc, s10, v16
	v_addc_co_u32_e32 v23, vcc, v15, v3, vcc
	global_load_dwordx2 v[26:27], v[22:23], off
.LBB63_29:                              ;   in Loop: Header=BB63_25 Depth=1
	s_or_b64 exec, exec, s[2:3]
	v_mov_b32_e32 v3, s21
	v_add_co_u32_e32 v22, vcc, s20, v31
	v_addc_co_u32_e32 v23, vcc, v32, v3, vcc
	v_pk_mov_b32 v[24:25], 0, 0
	v_cmp_gt_u64_e64 s[2:3], s[18:19], v[22:23]
	v_pk_mov_b32 v[28:29], v[24:25], v[24:25] op_sel:[0,1]
	s_and_saveexec_b64 s[4:5], s[2:3]
	s_cbranch_execz .LBB63_31
; %bb.30:                               ;   in Loop: Header=BB63_25 Depth=1
	v_mov_b32_e32 v3, s11
	v_add_co_u32_e32 v22, vcc, s10, v12
	v_addc_co_u32_e32 v23, vcc, v11, v3, vcc
	global_load_dwordx2 v[28:29], v[22:23], off
.LBB63_31:                              ;   in Loop: Header=BB63_25 Depth=1
	s_or_b64 exec, exec, s[4:5]
	v_mov_b32_e32 v3, s21
	v_add_co_u32_e32 v22, vcc, s20, v19
	v_addc_co_u32_e32 v23, vcc, v30, v3, vcc
	v_cmp_gt_u64_e64 s[4:5], s[18:19], v[22:23]
	s_and_saveexec_b64 s[8:9], s[4:5]
	s_cbranch_execz .LBB63_33
; %bb.32:                               ;   in Loop: Header=BB63_25 Depth=1
	v_mov_b32_e32 v3, s11
	v_add_co_u32_e32 v22, vcc, s10, v8
	v_addc_co_u32_e32 v23, vcc, v7, v3, vcc
	global_load_dwordx2 v[24:25], v[22:23], off
.LBB63_33:                              ;   in Loop: Header=BB63_25 Depth=1
	s_or_b64 exec, exec, s[8:9]
	global_load_dwordx2 v[22:23], v2, s[12:13]
	s_waitcnt vmcnt(0)
	v_readfirstlane_b32 s9, v22
	v_readfirstlane_b32 s8, v23
	s_mul_i32 s22, s9, s15
	s_mul_hi_u32 s23, s9, s14
	s_mul_i32 s8, s8, s14
	s_add_i32 s22, s23, s22
	s_add_i32 s33, s22, s8
	v_or_b32_e32 v3, s33, v27
	s_mul_i32 s31, s9, s14
	v_cmp_ne_u64_e32 vcc, 0, v[2:3]
                                        ; implicit-def: $vgpr22_vgpr23
	s_and_saveexec_b64 s[8:9], vcc
	s_xor_b64 s[22:23], exec, s[8:9]
	s_cbranch_execz .LBB63_35
; %bb.34:                               ;   in Loop: Header=BB63_25 Depth=1
	s_ashr_i32 s24, s33, 31
	s_add_u32 s8, s31, s24
	s_mov_b32 s25, s24
	s_addc_u32 s9, s33, s24
	s_xor_b64 s[26:27], s[8:9], s[24:25]
	v_cvt_f32_u32_e32 v3, s26
	v_cvt_f32_u32_e32 v22, s27
	s_sub_u32 s8, 0, s26
	s_subb_u32 s9, 0, s27
	v_mac_f32_e32 v3, 0x4f800000, v22
	v_rcp_f32_e32 v3, v3
	v_mul_f32_e32 v3, 0x5f7ffffc, v3
	v_mul_f32_e32 v22, 0x2f800000, v3
	v_trunc_f32_e32 v22, v22
	v_mac_f32_e32 v3, 0xcf800000, v22
	v_cvt_u32_f32_e32 v22, v22
	v_cvt_u32_f32_e32 v3, v3
	v_mul_lo_u32 v23, s8, v22
	v_mul_hi_u32 v36, s8, v3
	v_mul_lo_u32 v35, s9, v3
	v_add_u32_e32 v23, v36, v23
	v_mul_lo_u32 v37, s8, v3
	v_add_u32_e32 v23, v23, v35
	v_mul_lo_u32 v36, v3, v23
	v_mul_hi_u32 v38, v3, v37
	v_mul_hi_u32 v35, v3, v23
	v_add_co_u32_e32 v36, vcc, v38, v36
	v_addc_co_u32_e32 v35, vcc, 0, v35, vcc
	v_mul_hi_u32 v39, v22, v37
	v_mul_lo_u32 v37, v22, v37
	v_add_co_u32_e32 v36, vcc, v36, v37
	v_mul_hi_u32 v38, v22, v23
	v_addc_co_u32_e32 v35, vcc, v35, v39, vcc
	v_addc_co_u32_e32 v36, vcc, 0, v38, vcc
	v_mul_lo_u32 v23, v22, v23
	v_add_co_u32_e32 v23, vcc, v35, v23
	v_addc_co_u32_e32 v35, vcc, 0, v36, vcc
	v_add_co_u32_e32 v3, vcc, v3, v23
	v_addc_co_u32_e32 v22, vcc, v22, v35, vcc
	v_mul_lo_u32 v23, s8, v22
	v_mul_hi_u32 v35, s8, v3
	v_add_u32_e32 v23, v35, v23
	v_mul_lo_u32 v35, s9, v3
	v_add_u32_e32 v23, v23, v35
	v_mul_lo_u32 v36, s8, v3
	v_mul_hi_u32 v37, v22, v36
	v_mul_lo_u32 v38, v22, v36
	v_mul_lo_u32 v40, v3, v23
	v_mul_hi_u32 v36, v3, v36
	v_mul_hi_u32 v39, v3, v23
	v_add_co_u32_e32 v36, vcc, v36, v40
	v_addc_co_u32_e32 v39, vcc, 0, v39, vcc
	v_add_co_u32_e32 v36, vcc, v36, v38
	v_mul_hi_u32 v35, v22, v23
	v_addc_co_u32_e32 v36, vcc, v39, v37, vcc
	v_addc_co_u32_e32 v35, vcc, 0, v35, vcc
	v_mul_lo_u32 v23, v22, v23
	v_add_co_u32_e32 v23, vcc, v36, v23
	v_addc_co_u32_e32 v35, vcc, 0, v35, vcc
	v_add_co_u32_e32 v3, vcc, v3, v23
	v_addc_co_u32_e32 v35, vcc, v22, v35, vcc
	v_ashrrev_i32_e32 v36, 31, v27
	v_add_co_u32_e32 v22, vcc, v26, v36
	v_addc_co_u32_e32 v23, vcc, v27, v36, vcc
	v_xor_b32_e32 v38, v22, v36
	v_xor_b32_e32 v37, v23, v36
	v_mad_u64_u32 v[22:23], s[8:9], v38, v35, 0
	v_mul_hi_u32 v26, v38, v3
	v_add_co_u32_e32 v39, vcc, v26, v22
	v_addc_co_u32_e32 v40, vcc, 0, v23, vcc
	v_mad_u64_u32 v[26:27], s[8:9], v37, v3, 0
	v_add_co_u32_e32 v3, vcc, v39, v26
	v_mad_u64_u32 v[22:23], s[8:9], v37, v35, 0
	v_addc_co_u32_e32 v3, vcc, v40, v27, vcc
	v_addc_co_u32_e32 v23, vcc, 0, v23, vcc
	v_add_co_u32_e32 v3, vcc, v3, v22
	v_addc_co_u32_e32 v26, vcc, 0, v23, vcc
	v_mul_lo_u32 v27, s27, v3
	v_mul_lo_u32 v35, s26, v26
	v_mad_u64_u32 v[22:23], s[8:9], s26, v3, 0
	v_add3_u32 v23, v23, v35, v27
	v_sub_u32_e32 v27, v37, v23
	v_mov_b32_e32 v35, s27
	v_sub_co_u32_e32 v22, vcc, v38, v22
	v_subb_co_u32_e64 v27, s[8:9], v27, v35, vcc
	v_subrev_co_u32_e64 v35, s[8:9], s26, v22
	v_subbrev_co_u32_e64 v27, s[8:9], 0, v27, s[8:9]
	v_cmp_le_u32_e64 s[8:9], s27, v27
	v_cndmask_b32_e64 v38, 0, -1, s[8:9]
	v_cmp_le_u32_e64 s[8:9], s26, v35
	v_cndmask_b32_e64 v35, 0, -1, s[8:9]
	v_cmp_eq_u32_e64 s[8:9], s27, v27
	v_cndmask_b32_e64 v27, v38, v35, s[8:9]
	v_add_co_u32_e64 v35, s[8:9], 2, v3
	v_subb_co_u32_e32 v23, vcc, v37, v23, vcc
	v_addc_co_u32_e64 v38, s[8:9], 0, v26, s[8:9]
	v_cmp_le_u32_e32 vcc, s27, v23
	v_add_co_u32_e64 v39, s[8:9], 1, v3
	v_cndmask_b32_e64 v37, 0, -1, vcc
	v_cmp_le_u32_e32 vcc, s26, v22
	v_addc_co_u32_e64 v40, s[8:9], 0, v26, s[8:9]
	v_cndmask_b32_e64 v22, 0, -1, vcc
	v_cmp_eq_u32_e32 vcc, s27, v23
	v_cmp_ne_u32_e64 s[8:9], 0, v27
	v_cndmask_b32_e32 v22, v37, v22, vcc
	v_cmp_ne_u32_e32 vcc, 0, v22
	v_cndmask_b32_e64 v23, v39, v35, s[8:9]
	v_cndmask_b32_e64 v27, v40, v38, s[8:9]
	v_cndmask_b32_e32 v3, v3, v23, vcc
	v_xor_b32_e32 v23, s24, v36
	v_cndmask_b32_e32 v22, v26, v27, vcc
	v_xor_b32_e32 v3, v3, v23
	v_xor_b32_e32 v26, v22, v23
	v_sub_co_u32_e32 v22, vcc, v3, v23
	v_subb_co_u32_e32 v23, vcc, v26, v23, vcc
                                        ; implicit-def: $vgpr26_vgpr27
.LBB63_35:                              ;   in Loop: Header=BB63_25 Depth=1
	s_andn2_saveexec_b64 s[8:9], s[22:23]
	s_cbranch_execz .LBB63_37
; %bb.36:                               ;   in Loop: Header=BB63_25 Depth=1
	v_cvt_f32_u32_e32 v3, s31
	s_sub_i32 s22, 0, s31
	v_rcp_iflag_f32_e32 v3, v3
	v_mul_f32_e32 v3, 0x4f7ffffe, v3
	v_cvt_u32_f32_e32 v3, v3
	v_mul_lo_u32 v22, s22, v3
	v_mul_hi_u32 v22, v3, v22
	v_add_u32_e32 v3, v3, v22
	v_mul_hi_u32 v3, v26, v3
	v_mul_lo_u32 v22, v3, s31
	v_sub_u32_e32 v22, v26, v22
	v_add_u32_e32 v23, 1, v3
	v_subrev_u32_e32 v26, s31, v22
	v_cmp_le_u32_e32 vcc, s31, v22
	v_cndmask_b32_e32 v22, v22, v26, vcc
	v_cndmask_b32_e32 v3, v3, v23, vcc
	v_add_u32_e32 v23, 1, v3
	v_cmp_le_u32_e32 vcc, s31, v22
	v_cndmask_b32_e32 v22, v3, v23, vcc
	v_mov_b32_e32 v23, v2
.LBB63_37:                              ;   in Loop: Header=BB63_25 Depth=1
	s_or_b64 exec, exec, s[8:9]
	v_or_b32_e32 v3, s33, v29
	v_cmp_ne_u64_e32 vcc, 0, v[2:3]
                                        ; implicit-def: $vgpr26_vgpr27
	s_and_saveexec_b64 s[8:9], vcc
	s_xor_b64 s[22:23], exec, s[8:9]
	s_cbranch_execz .LBB63_39
; %bb.38:                               ;   in Loop: Header=BB63_25 Depth=1
	s_ashr_i32 s24, s33, 31
	s_add_u32 s8, s31, s24
	s_mov_b32 s25, s24
	s_addc_u32 s9, s33, s24
	s_xor_b64 s[26:27], s[8:9], s[24:25]
	v_cvt_f32_u32_e32 v3, s26
	v_cvt_f32_u32_e32 v26, s27
	s_sub_u32 s8, 0, s26
	s_subb_u32 s9, 0, s27
	v_mac_f32_e32 v3, 0x4f800000, v26
	v_rcp_f32_e32 v3, v3
	v_mul_f32_e32 v3, 0x5f7ffffc, v3
	v_mul_f32_e32 v26, 0x2f800000, v3
	v_trunc_f32_e32 v26, v26
	v_mac_f32_e32 v3, 0xcf800000, v26
	v_cvt_u32_f32_e32 v26, v26
	v_cvt_u32_f32_e32 v3, v3
	v_mul_lo_u32 v27, s8, v26
	v_mul_hi_u32 v36, s8, v3
	v_mul_lo_u32 v35, s9, v3
	v_add_u32_e32 v27, v36, v27
	v_mul_lo_u32 v37, s8, v3
	v_add_u32_e32 v27, v27, v35
	v_mul_lo_u32 v36, v3, v27
	v_mul_hi_u32 v38, v3, v37
	v_mul_hi_u32 v35, v3, v27
	v_add_co_u32_e32 v36, vcc, v38, v36
	v_addc_co_u32_e32 v35, vcc, 0, v35, vcc
	v_mul_hi_u32 v39, v26, v37
	v_mul_lo_u32 v37, v26, v37
	v_add_co_u32_e32 v36, vcc, v36, v37
	v_mul_hi_u32 v38, v26, v27
	v_addc_co_u32_e32 v35, vcc, v35, v39, vcc
	v_addc_co_u32_e32 v36, vcc, 0, v38, vcc
	v_mul_lo_u32 v27, v26, v27
	v_add_co_u32_e32 v27, vcc, v35, v27
	v_addc_co_u32_e32 v35, vcc, 0, v36, vcc
	v_add_co_u32_e32 v3, vcc, v3, v27
	v_addc_co_u32_e32 v26, vcc, v26, v35, vcc
	v_mul_lo_u32 v27, s8, v26
	v_mul_hi_u32 v35, s8, v3
	v_add_u32_e32 v27, v35, v27
	v_mul_lo_u32 v35, s9, v3
	v_add_u32_e32 v27, v27, v35
	v_mul_lo_u32 v36, s8, v3
	v_mul_hi_u32 v37, v26, v36
	v_mul_lo_u32 v38, v26, v36
	v_mul_lo_u32 v40, v3, v27
	v_mul_hi_u32 v36, v3, v36
	v_mul_hi_u32 v39, v3, v27
	v_add_co_u32_e32 v36, vcc, v36, v40
	v_addc_co_u32_e32 v39, vcc, 0, v39, vcc
	v_add_co_u32_e32 v36, vcc, v36, v38
	v_mul_hi_u32 v35, v26, v27
	v_addc_co_u32_e32 v36, vcc, v39, v37, vcc
	v_addc_co_u32_e32 v35, vcc, 0, v35, vcc
	v_mul_lo_u32 v27, v26, v27
	v_add_co_u32_e32 v27, vcc, v36, v27
	v_addc_co_u32_e32 v35, vcc, 0, v35, vcc
	v_add_co_u32_e32 v3, vcc, v3, v27
	v_addc_co_u32_e32 v35, vcc, v26, v35, vcc
	v_ashrrev_i32_e32 v36, 31, v29
	v_add_co_u32_e32 v26, vcc, v28, v36
	v_addc_co_u32_e32 v27, vcc, v29, v36, vcc
	v_xor_b32_e32 v38, v26, v36
	v_xor_b32_e32 v37, v27, v36
	v_mad_u64_u32 v[26:27], s[8:9], v38, v35, 0
	v_mul_hi_u32 v28, v38, v3
	v_add_co_u32_e32 v39, vcc, v28, v26
	v_addc_co_u32_e32 v40, vcc, 0, v27, vcc
	v_mad_u64_u32 v[28:29], s[8:9], v37, v3, 0
	v_add_co_u32_e32 v3, vcc, v39, v28
	v_mad_u64_u32 v[26:27], s[8:9], v37, v35, 0
	v_addc_co_u32_e32 v3, vcc, v40, v29, vcc
	v_addc_co_u32_e32 v27, vcc, 0, v27, vcc
	v_add_co_u32_e32 v3, vcc, v3, v26
	v_addc_co_u32_e32 v28, vcc, 0, v27, vcc
	v_mul_lo_u32 v29, s27, v3
	v_mul_lo_u32 v35, s26, v28
	v_mad_u64_u32 v[26:27], s[8:9], s26, v3, 0
	v_add3_u32 v27, v27, v35, v29
	v_sub_u32_e32 v29, v37, v27
	v_mov_b32_e32 v35, s27
	v_sub_co_u32_e32 v26, vcc, v38, v26
	v_subb_co_u32_e64 v29, s[8:9], v29, v35, vcc
	v_subrev_co_u32_e64 v35, s[8:9], s26, v26
	v_subbrev_co_u32_e64 v29, s[8:9], 0, v29, s[8:9]
	v_cmp_le_u32_e64 s[8:9], s27, v29
	v_cndmask_b32_e64 v38, 0, -1, s[8:9]
	v_cmp_le_u32_e64 s[8:9], s26, v35
	v_cndmask_b32_e64 v35, 0, -1, s[8:9]
	v_cmp_eq_u32_e64 s[8:9], s27, v29
	v_cndmask_b32_e64 v29, v38, v35, s[8:9]
	v_add_co_u32_e64 v35, s[8:9], 2, v3
	v_subb_co_u32_e32 v27, vcc, v37, v27, vcc
	v_addc_co_u32_e64 v38, s[8:9], 0, v28, s[8:9]
	v_cmp_le_u32_e32 vcc, s27, v27
	v_add_co_u32_e64 v39, s[8:9], 1, v3
	v_cndmask_b32_e64 v37, 0, -1, vcc
	v_cmp_le_u32_e32 vcc, s26, v26
	v_addc_co_u32_e64 v40, s[8:9], 0, v28, s[8:9]
	v_cndmask_b32_e64 v26, 0, -1, vcc
	v_cmp_eq_u32_e32 vcc, s27, v27
	v_cmp_ne_u32_e64 s[8:9], 0, v29
	v_cndmask_b32_e32 v26, v37, v26, vcc
	v_cmp_ne_u32_e32 vcc, 0, v26
	v_cndmask_b32_e64 v27, v39, v35, s[8:9]
	v_cndmask_b32_e64 v29, v40, v38, s[8:9]
	v_cndmask_b32_e32 v3, v3, v27, vcc
	v_xor_b32_e32 v27, s24, v36
	v_cndmask_b32_e32 v26, v28, v29, vcc
	v_xor_b32_e32 v3, v3, v27
	v_xor_b32_e32 v28, v26, v27
	v_sub_co_u32_e32 v26, vcc, v3, v27
	v_subb_co_u32_e32 v27, vcc, v28, v27, vcc
                                        ; implicit-def: $vgpr28_vgpr29
.LBB63_39:                              ;   in Loop: Header=BB63_25 Depth=1
	s_andn2_saveexec_b64 s[8:9], s[22:23]
	s_cbranch_execz .LBB63_41
; %bb.40:                               ;   in Loop: Header=BB63_25 Depth=1
	v_cvt_f32_u32_e32 v3, s31
	s_sub_i32 s22, 0, s31
	v_rcp_iflag_f32_e32 v3, v3
	v_mul_f32_e32 v3, 0x4f7ffffe, v3
	v_cvt_u32_f32_e32 v3, v3
	v_mul_lo_u32 v26, s22, v3
	v_mul_hi_u32 v26, v3, v26
	v_add_u32_e32 v3, v3, v26
	v_mul_hi_u32 v3, v28, v3
	v_mul_lo_u32 v26, v3, s31
	v_sub_u32_e32 v26, v28, v26
	v_add_u32_e32 v27, 1, v3
	v_subrev_u32_e32 v28, s31, v26
	v_cmp_le_u32_e32 vcc, s31, v26
	v_cndmask_b32_e32 v26, v26, v28, vcc
	v_cndmask_b32_e32 v3, v3, v27, vcc
	v_add_u32_e32 v27, 1, v3
	v_cmp_le_u32_e32 vcc, s31, v26
	v_cndmask_b32_e32 v26, v3, v27, vcc
	v_mov_b32_e32 v27, v2
.LBB63_41:                              ;   in Loop: Header=BB63_25 Depth=1
	s_or_b64 exec, exec, s[8:9]
	v_or_b32_e32 v3, s33, v25
	v_cmp_ne_u64_e32 vcc, 0, v[2:3]
                                        ; implicit-def: $vgpr28_vgpr29
	s_and_saveexec_b64 s[8:9], vcc
	s_xor_b64 s[22:23], exec, s[8:9]
	s_cbranch_execnz .LBB63_47
; %bb.42:                               ;   in Loop: Header=BB63_25 Depth=1
	s_andn2_saveexec_b64 s[8:9], s[22:23]
	s_cbranch_execnz .LBB63_48
.LBB63_43:                              ;   in Loop: Header=BB63_25 Depth=1
	s_or_b64 exec, exec, s[8:9]
	s_and_saveexec_b64 s[8:9], s[6:7]
	s_cbranch_execnz .LBB63_49
.LBB63_44:                              ;   in Loop: Header=BB63_25 Depth=1
	s_or_b64 exec, exec, s[8:9]
	s_and_saveexec_b64 s[6:7], s[0:1]
	s_cbranch_execnz .LBB63_54
.LBB63_45:                              ;   in Loop: Header=BB63_25 Depth=1
	s_or_b64 exec, exec, s[6:7]
	s_and_saveexec_b64 s[0:1], s[2:3]
	s_cbranch_execnz .LBB63_55
.LBB63_46:                              ;   in Loop: Header=BB63_25 Depth=1
	s_or_b64 exec, exec, s[0:1]
	s_and_saveexec_b64 s[0:1], s[4:5]
	s_cbranch_execz .LBB63_24
	s_branch .LBB63_56
.LBB63_47:                              ;   in Loop: Header=BB63_25 Depth=1
	s_ashr_i32 s24, s33, 31
	s_add_u32 s8, s31, s24
	s_mov_b32 s25, s24
	s_addc_u32 s9, s33, s24
	s_xor_b64 s[26:27], s[8:9], s[24:25]
	v_cvt_f32_u32_e32 v3, s26
	v_cvt_f32_u32_e32 v28, s27
	s_sub_u32 s8, 0, s26
	s_subb_u32 s9, 0, s27
	v_mac_f32_e32 v3, 0x4f800000, v28
	v_rcp_f32_e32 v3, v3
	v_mul_f32_e32 v3, 0x5f7ffffc, v3
	v_mul_f32_e32 v28, 0x2f800000, v3
	v_trunc_f32_e32 v28, v28
	v_mac_f32_e32 v3, 0xcf800000, v28
	v_cvt_u32_f32_e32 v28, v28
	v_cvt_u32_f32_e32 v3, v3
	v_mul_lo_u32 v29, s8, v28
	v_mul_hi_u32 v36, s8, v3
	v_mul_lo_u32 v35, s9, v3
	v_add_u32_e32 v29, v36, v29
	v_mul_lo_u32 v37, s8, v3
	v_add_u32_e32 v29, v29, v35
	v_mul_lo_u32 v36, v3, v29
	v_mul_hi_u32 v38, v3, v37
	v_mul_hi_u32 v35, v3, v29
	v_add_co_u32_e32 v36, vcc, v38, v36
	v_addc_co_u32_e32 v35, vcc, 0, v35, vcc
	v_mul_hi_u32 v39, v28, v37
	v_mul_lo_u32 v37, v28, v37
	v_add_co_u32_e32 v36, vcc, v36, v37
	v_mul_hi_u32 v38, v28, v29
	v_addc_co_u32_e32 v35, vcc, v35, v39, vcc
	v_addc_co_u32_e32 v36, vcc, 0, v38, vcc
	v_mul_lo_u32 v29, v28, v29
	v_add_co_u32_e32 v29, vcc, v35, v29
	v_addc_co_u32_e32 v35, vcc, 0, v36, vcc
	v_add_co_u32_e32 v3, vcc, v3, v29
	v_addc_co_u32_e32 v28, vcc, v28, v35, vcc
	v_mul_lo_u32 v29, s8, v28
	v_mul_hi_u32 v35, s8, v3
	v_add_u32_e32 v29, v35, v29
	v_mul_lo_u32 v35, s9, v3
	v_add_u32_e32 v29, v29, v35
	v_mul_lo_u32 v36, s8, v3
	v_mul_hi_u32 v37, v28, v36
	v_mul_lo_u32 v38, v28, v36
	v_mul_lo_u32 v40, v3, v29
	v_mul_hi_u32 v36, v3, v36
	v_mul_hi_u32 v39, v3, v29
	v_add_co_u32_e32 v36, vcc, v36, v40
	v_addc_co_u32_e32 v39, vcc, 0, v39, vcc
	v_add_co_u32_e32 v36, vcc, v36, v38
	v_mul_hi_u32 v35, v28, v29
	v_addc_co_u32_e32 v36, vcc, v39, v37, vcc
	v_addc_co_u32_e32 v35, vcc, 0, v35, vcc
	v_mul_lo_u32 v29, v28, v29
	v_add_co_u32_e32 v29, vcc, v36, v29
	v_addc_co_u32_e32 v35, vcc, 0, v35, vcc
	v_add_co_u32_e32 v3, vcc, v3, v29
	v_addc_co_u32_e32 v28, vcc, v28, v35, vcc
	v_ashrrev_i32_e32 v35, 31, v25
	v_add_co_u32_e32 v24, vcc, v24, v35
	v_addc_co_u32_e32 v25, vcc, v25, v35, vcc
	v_xor_b32_e32 v37, v24, v35
	v_xor_b32_e32 v36, v25, v35
	v_mad_u64_u32 v[24:25], s[8:9], v37, v28, 0
	v_mul_hi_u32 v29, v37, v3
	v_add_co_u32_e32 v38, vcc, v29, v24
	v_addc_co_u32_e32 v39, vcc, 0, v25, vcc
	v_mad_u64_u32 v[24:25], s[8:9], v36, v28, 0
	v_mad_u64_u32 v[28:29], s[8:9], v36, v3, 0
	v_add_co_u32_e32 v3, vcc, v38, v28
	v_addc_co_u32_e32 v3, vcc, v39, v29, vcc
	v_addc_co_u32_e32 v25, vcc, 0, v25, vcc
	v_add_co_u32_e32 v3, vcc, v3, v24
	v_addc_co_u32_e32 v28, vcc, 0, v25, vcc
	v_mul_lo_u32 v29, s27, v3
	v_mul_lo_u32 v38, s26, v28
	v_mad_u64_u32 v[24:25], s[8:9], s26, v3, 0
	v_add3_u32 v25, v25, v38, v29
	v_sub_u32_e32 v29, v36, v25
	v_mov_b32_e32 v38, s27
	v_sub_co_u32_e32 v24, vcc, v37, v24
	v_subb_co_u32_e64 v29, s[8:9], v29, v38, vcc
	v_subrev_co_u32_e64 v37, s[8:9], s26, v24
	v_subbrev_co_u32_e64 v29, s[8:9], 0, v29, s[8:9]
	v_cmp_le_u32_e64 s[8:9], s27, v29
	v_cndmask_b32_e64 v38, 0, -1, s[8:9]
	v_cmp_le_u32_e64 s[8:9], s26, v37
	v_cndmask_b32_e64 v37, 0, -1, s[8:9]
	v_cmp_eq_u32_e64 s[8:9], s27, v29
	v_cndmask_b32_e64 v29, v38, v37, s[8:9]
	v_add_co_u32_e64 v37, s[8:9], 2, v3
	v_subb_co_u32_e32 v25, vcc, v36, v25, vcc
	v_addc_co_u32_e64 v38, s[8:9], 0, v28, s[8:9]
	v_cmp_le_u32_e32 vcc, s27, v25
	v_add_co_u32_e64 v39, s[8:9], 1, v3
	v_cndmask_b32_e64 v36, 0, -1, vcc
	v_cmp_le_u32_e32 vcc, s26, v24
	v_addc_co_u32_e64 v40, s[8:9], 0, v28, s[8:9]
	v_cndmask_b32_e64 v24, 0, -1, vcc
	v_cmp_eq_u32_e32 vcc, s27, v25
	v_cmp_ne_u32_e64 s[8:9], 0, v29
	v_cndmask_b32_e32 v24, v36, v24, vcc
	v_cmp_ne_u32_e32 vcc, 0, v24
	v_cndmask_b32_e64 v25, v39, v37, s[8:9]
	v_cndmask_b32_e64 v29, v40, v38, s[8:9]
	v_cndmask_b32_e32 v3, v3, v25, vcc
	v_xor_b32_e32 v25, s24, v35
	v_cndmask_b32_e32 v24, v28, v29, vcc
	v_xor_b32_e32 v3, v3, v25
	v_xor_b32_e32 v24, v24, v25
	v_sub_co_u32_e32 v28, vcc, v3, v25
	v_subb_co_u32_e32 v29, vcc, v24, v25, vcc
                                        ; implicit-def: $vgpr24_vgpr25
	s_andn2_saveexec_b64 s[8:9], s[22:23]
	s_cbranch_execz .LBB63_43
.LBB63_48:                              ;   in Loop: Header=BB63_25 Depth=1
	v_cvt_f32_u32_e32 v3, s31
	s_sub_i32 s22, 0, s31
	v_mov_b32_e32 v29, v2
	v_rcp_iflag_f32_e32 v3, v3
	v_mul_f32_e32 v3, 0x4f7ffffe, v3
	v_cvt_u32_f32_e32 v3, v3
	v_mul_lo_u32 v25, s22, v3
	v_mul_hi_u32 v25, v3, v25
	v_add_u32_e32 v3, v3, v25
	v_mul_hi_u32 v3, v24, v3
	v_mul_lo_u32 v25, v3, s31
	v_sub_u32_e32 v24, v24, v25
	v_add_u32_e32 v28, 1, v3
	v_subrev_u32_e32 v25, s31, v24
	v_cmp_le_u32_e32 vcc, s31, v24
	v_cndmask_b32_e32 v24, v24, v25, vcc
	v_cndmask_b32_e32 v3, v3, v28, vcc
	v_add_u32_e32 v25, 1, v3
	v_cmp_le_u32_e32 vcc, s31, v24
	v_cndmask_b32_e32 v28, v3, v25, vcc
	s_or_b64 exec, exec, s[8:9]
	s_and_saveexec_b64 s[8:9], s[6:7]
	s_cbranch_execz .LBB63_44
.LBB63_49:                              ;   in Loop: Header=BB63_25 Depth=1
	v_or_b32_e32 v3, s33, v21
	v_cmp_ne_u64_e32 vcc, 0, v[2:3]
                                        ; implicit-def: $vgpr24_vgpr25
	s_and_saveexec_b64 s[6:7], vcc
	s_xor_b64 s[22:23], exec, s[6:7]
	s_cbranch_execz .LBB63_51
; %bb.50:                               ;   in Loop: Header=BB63_25 Depth=1
	s_ashr_i32 s24, s33, 31
	s_add_u32 s6, s31, s24
	s_mov_b32 s25, s24
	s_addc_u32 s7, s33, s24
	s_xor_b64 s[26:27], s[6:7], s[24:25]
	v_cvt_f32_u32_e32 v3, s26
	v_cvt_f32_u32_e32 v24, s27
	s_sub_u32 s6, 0, s26
	s_subb_u32 s7, 0, s27
	v_mac_f32_e32 v3, 0x4f800000, v24
	v_rcp_f32_e32 v3, v3
	v_mul_f32_e32 v3, 0x5f7ffffc, v3
	v_mul_f32_e32 v24, 0x2f800000, v3
	v_trunc_f32_e32 v24, v24
	v_mac_f32_e32 v3, 0xcf800000, v24
	v_cvt_u32_f32_e32 v24, v24
	v_cvt_u32_f32_e32 v3, v3
	v_mul_lo_u32 v25, s6, v24
	v_mul_hi_u32 v36, s6, v3
	v_mul_lo_u32 v35, s7, v3
	v_add_u32_e32 v25, v36, v25
	v_mul_lo_u32 v37, s6, v3
	v_add_u32_e32 v25, v25, v35
	v_mul_lo_u32 v36, v3, v25
	v_mul_hi_u32 v38, v3, v37
	v_mul_hi_u32 v35, v3, v25
	v_add_co_u32_e32 v36, vcc, v38, v36
	v_addc_co_u32_e32 v35, vcc, 0, v35, vcc
	v_mul_hi_u32 v39, v24, v37
	v_mul_lo_u32 v37, v24, v37
	v_add_co_u32_e32 v36, vcc, v36, v37
	v_mul_hi_u32 v38, v24, v25
	v_addc_co_u32_e32 v35, vcc, v35, v39, vcc
	v_addc_co_u32_e32 v36, vcc, 0, v38, vcc
	v_mul_lo_u32 v25, v24, v25
	v_add_co_u32_e32 v25, vcc, v35, v25
	v_addc_co_u32_e32 v35, vcc, 0, v36, vcc
	v_add_co_u32_e32 v3, vcc, v3, v25
	v_addc_co_u32_e32 v24, vcc, v24, v35, vcc
	v_mul_lo_u32 v25, s6, v24
	v_mul_hi_u32 v35, s6, v3
	v_add_u32_e32 v25, v35, v25
	v_mul_lo_u32 v35, s7, v3
	v_add_u32_e32 v25, v25, v35
	v_mul_lo_u32 v36, s6, v3
	v_mul_hi_u32 v37, v24, v36
	v_mul_lo_u32 v38, v24, v36
	v_mul_lo_u32 v40, v3, v25
	v_mul_hi_u32 v36, v3, v36
	v_mul_hi_u32 v39, v3, v25
	v_add_co_u32_e32 v36, vcc, v36, v40
	v_addc_co_u32_e32 v39, vcc, 0, v39, vcc
	v_add_co_u32_e32 v36, vcc, v36, v38
	v_mul_hi_u32 v35, v24, v25
	v_addc_co_u32_e32 v36, vcc, v39, v37, vcc
	v_addc_co_u32_e32 v35, vcc, 0, v35, vcc
	v_mul_lo_u32 v25, v24, v25
	v_add_co_u32_e32 v25, vcc, v36, v25
	v_addc_co_u32_e32 v35, vcc, 0, v35, vcc
	v_add_co_u32_e32 v3, vcc, v3, v25
	v_addc_co_u32_e32 v24, vcc, v24, v35, vcc
	v_ashrrev_i32_e32 v35, 31, v21
	v_add_co_u32_e32 v20, vcc, v20, v35
	v_addc_co_u32_e32 v21, vcc, v21, v35, vcc
	v_xor_b32_e32 v37, v20, v35
	v_xor_b32_e32 v36, v21, v35
	v_mad_u64_u32 v[20:21], s[6:7], v37, v24, 0
	v_mul_hi_u32 v25, v37, v3
	v_add_co_u32_e32 v38, vcc, v25, v20
	v_addc_co_u32_e32 v39, vcc, 0, v21, vcc
	v_mad_u64_u32 v[20:21], s[6:7], v36, v24, 0
	v_mad_u64_u32 v[24:25], s[6:7], v36, v3, 0
	v_add_co_u32_e32 v3, vcc, v38, v24
	v_addc_co_u32_e32 v3, vcc, v39, v25, vcc
	v_addc_co_u32_e32 v21, vcc, 0, v21, vcc
	v_add_co_u32_e32 v3, vcc, v3, v20
	v_addc_co_u32_e32 v24, vcc, 0, v21, vcc
	v_mul_lo_u32 v25, s27, v3
	v_mul_lo_u32 v38, s26, v24
	v_mad_u64_u32 v[20:21], s[6:7], s26, v3, 0
	v_add3_u32 v21, v21, v38, v25
	v_sub_u32_e32 v25, v36, v21
	v_mov_b32_e32 v38, s27
	v_sub_co_u32_e32 v20, vcc, v37, v20
	v_subb_co_u32_e64 v25, s[6:7], v25, v38, vcc
	v_subrev_co_u32_e64 v37, s[6:7], s26, v20
	v_subbrev_co_u32_e64 v25, s[6:7], 0, v25, s[6:7]
	v_cmp_le_u32_e64 s[6:7], s27, v25
	v_cndmask_b32_e64 v38, 0, -1, s[6:7]
	v_cmp_le_u32_e64 s[6:7], s26, v37
	v_cndmask_b32_e64 v37, 0, -1, s[6:7]
	v_cmp_eq_u32_e64 s[6:7], s27, v25
	v_cndmask_b32_e64 v25, v38, v37, s[6:7]
	v_add_co_u32_e64 v37, s[6:7], 2, v3
	v_subb_co_u32_e32 v21, vcc, v36, v21, vcc
	v_addc_co_u32_e64 v38, s[6:7], 0, v24, s[6:7]
	v_cmp_le_u32_e32 vcc, s27, v21
	v_add_co_u32_e64 v39, s[6:7], 1, v3
	v_cndmask_b32_e64 v36, 0, -1, vcc
	v_cmp_le_u32_e32 vcc, s26, v20
	v_addc_co_u32_e64 v40, s[6:7], 0, v24, s[6:7]
	v_cndmask_b32_e64 v20, 0, -1, vcc
	v_cmp_eq_u32_e32 vcc, s27, v21
	v_cmp_ne_u32_e64 s[6:7], 0, v25
	v_cndmask_b32_e32 v20, v36, v20, vcc
	v_cmp_ne_u32_e32 vcc, 0, v20
	v_cndmask_b32_e64 v21, v39, v37, s[6:7]
	v_cndmask_b32_e64 v25, v40, v38, s[6:7]
	v_cndmask_b32_e32 v3, v3, v21, vcc
	v_xor_b32_e32 v21, s24, v35
	v_cndmask_b32_e32 v20, v24, v25, vcc
	v_xor_b32_e32 v3, v3, v21
	v_xor_b32_e32 v20, v20, v21
	v_sub_co_u32_e32 v24, vcc, v3, v21
	v_subb_co_u32_e32 v25, vcc, v20, v21, vcc
                                        ; implicit-def: $vgpr20_vgpr21
.LBB63_51:                              ;   in Loop: Header=BB63_25 Depth=1
	s_andn2_saveexec_b64 s[6:7], s[22:23]
	s_cbranch_execz .LBB63_53
; %bb.52:                               ;   in Loop: Header=BB63_25 Depth=1
	v_cvt_f32_u32_e32 v3, s31
	s_sub_i32 s22, 0, s31
	v_mov_b32_e32 v25, v2
	v_rcp_iflag_f32_e32 v3, v3
	v_mul_f32_e32 v3, 0x4f7ffffe, v3
	v_cvt_u32_f32_e32 v3, v3
	v_mul_lo_u32 v21, s22, v3
	v_mul_hi_u32 v21, v3, v21
	v_add_u32_e32 v3, v3, v21
	v_mul_hi_u32 v3, v20, v3
	v_mul_lo_u32 v21, v3, s31
	v_sub_u32_e32 v20, v20, v21
	v_add_u32_e32 v24, 1, v3
	v_subrev_u32_e32 v21, s31, v20
	v_cmp_le_u32_e32 vcc, s31, v20
	v_cndmask_b32_e32 v20, v20, v21, vcc
	v_cndmask_b32_e32 v3, v3, v24, vcc
	v_add_u32_e32 v21, 1, v3
	v_cmp_le_u32_e32 vcc, s31, v20
	v_cndmask_b32_e32 v24, v3, v21, vcc
.LBB63_53:                              ;   in Loop: Header=BB63_25 Depth=1
	s_or_b64 exec, exec, s[6:7]
	v_mov_b32_e32 v3, s11
	v_add_co_u32_e32 v20, vcc, s10, v6
	v_addc_co_u32_e32 v21, vcc, v5, v3, vcc
	global_store_dwordx2 v[20:21], v[24:25], off
	s_or_b64 exec, exec, s[8:9]
	s_and_saveexec_b64 s[6:7], s[0:1]
	s_cbranch_execz .LBB63_45
.LBB63_54:                              ;   in Loop: Header=BB63_25 Depth=1
	v_mov_b32_e32 v3, s11
	v_add_co_u32_e32 v20, vcc, s10, v18
	v_addc_co_u32_e32 v21, vcc, v17, v3, vcc
	global_store_dwordx2 v[20:21], v[22:23], off
	s_or_b64 exec, exec, s[6:7]
	s_and_saveexec_b64 s[0:1], s[2:3]
	s_cbranch_execz .LBB63_46
.LBB63_55:                              ;   in Loop: Header=BB63_25 Depth=1
	v_mov_b32_e32 v3, s11
	v_add_co_u32_e32 v20, vcc, s10, v14
	v_addc_co_u32_e32 v21, vcc, v13, v3, vcc
	global_store_dwordx2 v[20:21], v[26:27], off
	s_or_b64 exec, exec, s[0:1]
	s_and_saveexec_b64 s[0:1], s[4:5]
	s_cbranch_execz .LBB63_24
.LBB63_56:                              ;   in Loop: Header=BB63_25 Depth=1
	v_mov_b32_e32 v3, s11
	v_add_co_u32_e32 v20, vcc, s10, v10
	v_addc_co_u32_e32 v21, vcc, v9, v3, vcc
	global_store_dwordx2 v[20:21], v[28:29], off
	s_branch .LBB63_24
.LBB63_57:
	s_endpgm
	.section	.rodata,"a",@progbits
	.p2align	6, 0x0
	.amdhsa_kernel _ZN2at6native12_GLOBAL__N_125multi_tensor_apply_kernelINS1_18TensorListMetadataILi2EEENS1_27BinaryOpScalarTensorFunctorIlLi2ELi1ELi1EEEJSt7dividesIlEPllEEEvT_T0_DpT1_
		.amdhsa_group_segment_fixed_size 0
		.amdhsa_private_segment_fixed_size 0
		.amdhsa_kernarg_size 3424
		.amdhsa_user_sgpr_count 6
		.amdhsa_user_sgpr_private_segment_buffer 1
		.amdhsa_user_sgpr_dispatch_ptr 0
		.amdhsa_user_sgpr_queue_ptr 0
		.amdhsa_user_sgpr_kernarg_segment_ptr 1
		.amdhsa_user_sgpr_dispatch_id 0
		.amdhsa_user_sgpr_flat_scratch_init 0
		.amdhsa_user_sgpr_kernarg_preload_length 0
		.amdhsa_user_sgpr_kernarg_preload_offset 0
		.amdhsa_user_sgpr_private_segment_size 0
		.amdhsa_uses_dynamic_stack 0
		.amdhsa_system_sgpr_private_segment_wavefront_offset 0
		.amdhsa_system_sgpr_workgroup_id_x 1
		.amdhsa_system_sgpr_workgroup_id_y 0
		.amdhsa_system_sgpr_workgroup_id_z 0
		.amdhsa_system_sgpr_workgroup_info 0
		.amdhsa_system_vgpr_workitem_id 0
		.amdhsa_next_free_vgpr 41
		.amdhsa_next_free_sgpr 38
		.amdhsa_accum_offset 44
		.amdhsa_reserve_vcc 1
		.amdhsa_reserve_flat_scratch 0
		.amdhsa_float_round_mode_32 0
		.amdhsa_float_round_mode_16_64 0
		.amdhsa_float_denorm_mode_32 3
		.amdhsa_float_denorm_mode_16_64 3
		.amdhsa_dx10_clamp 1
		.amdhsa_ieee_mode 1
		.amdhsa_fp16_overflow 0
		.amdhsa_tg_split 0
		.amdhsa_exception_fp_ieee_invalid_op 0
		.amdhsa_exception_fp_denorm_src 0
		.amdhsa_exception_fp_ieee_div_zero 0
		.amdhsa_exception_fp_ieee_overflow 0
		.amdhsa_exception_fp_ieee_underflow 0
		.amdhsa_exception_fp_ieee_inexact 0
		.amdhsa_exception_int_div_zero 0
	.end_amdhsa_kernel
	.section	.text._ZN2at6native12_GLOBAL__N_125multi_tensor_apply_kernelINS1_18TensorListMetadataILi2EEENS1_27BinaryOpScalarTensorFunctorIlLi2ELi1ELi1EEEJSt7dividesIlEPllEEEvT_T0_DpT1_,"axG",@progbits,_ZN2at6native12_GLOBAL__N_125multi_tensor_apply_kernelINS1_18TensorListMetadataILi2EEENS1_27BinaryOpScalarTensorFunctorIlLi2ELi1ELi1EEEJSt7dividesIlEPllEEEvT_T0_DpT1_,comdat
.Lfunc_end63:
	.size	_ZN2at6native12_GLOBAL__N_125multi_tensor_apply_kernelINS1_18TensorListMetadataILi2EEENS1_27BinaryOpScalarTensorFunctorIlLi2ELi1ELi1EEEJSt7dividesIlEPllEEEvT_T0_DpT1_, .Lfunc_end63-_ZN2at6native12_GLOBAL__N_125multi_tensor_apply_kernelINS1_18TensorListMetadataILi2EEENS1_27BinaryOpScalarTensorFunctorIlLi2ELi1ELi1EEEJSt7dividesIlEPllEEEvT_T0_DpT1_
                                        ; -- End function
	.section	.AMDGPU.csdata,"",@progbits
; Kernel info:
; codeLenInByte = 7692
; NumSgprs: 42
; NumVgprs: 41
; NumAgprs: 0
; TotalNumVgprs: 41
; ScratchSize: 0
; MemoryBound: 1
; FloatMode: 240
; IeeeMode: 1
; LDSByteSize: 0 bytes/workgroup (compile time only)
; SGPRBlocks: 5
; VGPRBlocks: 5
; NumSGPRsForWavesPerEU: 42
; NumVGPRsForWavesPerEU: 41
; AccumOffset: 44
; Occupancy: 8
; WaveLimiterHint : 0
; COMPUTE_PGM_RSRC2:SCRATCH_EN: 0
; COMPUTE_PGM_RSRC2:USER_SGPR: 6
; COMPUTE_PGM_RSRC2:TRAP_HANDLER: 0
; COMPUTE_PGM_RSRC2:TGID_X_EN: 1
; COMPUTE_PGM_RSRC2:TGID_Y_EN: 0
; COMPUTE_PGM_RSRC2:TGID_Z_EN: 0
; COMPUTE_PGM_RSRC2:TIDIG_COMP_CNT: 0
; COMPUTE_PGM_RSRC3_GFX90A:ACCUM_OFFSET: 10
; COMPUTE_PGM_RSRC3_GFX90A:TG_SPLIT: 0
	.section	.text._ZN2at6native12_GLOBAL__N_125multi_tensor_apply_kernelINS1_18TensorListMetadataILi2EEENS1_27BinaryOpScalarTensorFunctorIsLi2ELi1ELi1EEEJSt7dividesIsEPssEEEvT_T0_DpT1_,"axG",@progbits,_ZN2at6native12_GLOBAL__N_125multi_tensor_apply_kernelINS1_18TensorListMetadataILi2EEENS1_27BinaryOpScalarTensorFunctorIsLi2ELi1ELi1EEEJSt7dividesIsEPssEEEvT_T0_DpT1_,comdat
	.globl	_ZN2at6native12_GLOBAL__N_125multi_tensor_apply_kernelINS1_18TensorListMetadataILi2EEENS1_27BinaryOpScalarTensorFunctorIsLi2ELi1ELi1EEEJSt7dividesIsEPssEEEvT_T0_DpT1_ ; -- Begin function _ZN2at6native12_GLOBAL__N_125multi_tensor_apply_kernelINS1_18TensorListMetadataILi2EEENS1_27BinaryOpScalarTensorFunctorIsLi2ELi1ELi1EEEJSt7dividesIsEPssEEEvT_T0_DpT1_
	.p2align	8
	.type	_ZN2at6native12_GLOBAL__N_125multi_tensor_apply_kernelINS1_18TensorListMetadataILi2EEENS1_27BinaryOpScalarTensorFunctorIsLi2ELi1ELi1EEEJSt7dividesIsEPssEEEvT_T0_DpT1_,@function
_ZN2at6native12_GLOBAL__N_125multi_tensor_apply_kernelINS1_18TensorListMetadataILi2EEENS1_27BinaryOpScalarTensorFunctorIsLi2ELi1ELi1EEEJSt7dividesIsEPssEEEvT_T0_DpT1_: ; @_ZN2at6native12_GLOBAL__N_125multi_tensor_apply_kernelINS1_18TensorListMetadataILi2EEENS1_27BinaryOpScalarTensorFunctorIsLi2ELi1ELi1EEEJSt7dividesIsEPssEEEvT_T0_DpT1_
; %bb.0:
	v_mov_b32_e32 v1, s6
	global_load_ubyte v1, v1, s[4:5] offset:1536
	s_load_dword s22, s[4:5], 0xc58
	s_add_u32 s0, s4, s6
	s_mul_hi_u32 s2, s6, 3
	s_mul_i32 s6, s6, 3
	s_addc_u32 s7, s5, 0
	s_add_u32 s6, s0, s6
	s_addc_u32 s7, s7, s2
	s_load_dword s12, s[6:7], 0x740
	s_mov_b32 s1, 0
	s_mov_b32 s19, s1
	;; [unrolled: 1-line block ×3, first 2 shown]
	s_waitcnt lgkmcnt(0)
	s_ashr_i32 s13, s12, 31
	s_lshl_b64 s[10:11], s[12:13], 17
	s_lshl_b64 s[12:13], s[12:13], 16
	s_waitcnt vmcnt(0)
	v_readfirstlane_b32 s0, v1
	s_lshl_b32 s0, s0, 3
	s_load_dwordx2 s[16:17], s[4:5], s0 offset:0x0
	s_load_dwordx2 s[8:9], s[4:5], 0xc50
	s_load_dwordx2 s[14:15], s[4:5], s0 offset:0x400
	s_load_dwordx2 s[6:7], s[4:5], s0 offset:0x200
	s_waitcnt lgkmcnt(0)
	s_and_b32 s0, s16, 7
	s_and_b32 s18, s14, 3
	;; [unrolled: 1-line block ×3, first 2 shown]
	s_or_b64 s[18:19], s[0:1], s[18:19]
	s_or_b64 s[2:3], s[2:3], s[18:19]
	s_sub_u32 s12, s14, s12
	s_subb_u32 s13, s15, s13
	s_cmp_eq_u64 s[2:3], 0
	s_mov_b64 s[2:3], -1
	s_cbranch_scc0 .LBB64_5
; %bb.1:
	v_mov_b32_e32 v3, 0
	v_lshlrev_b32_e32 v2, 2, v0
	v_cmp_gt_i64_e32 vcc, s[12:13], v[2:3]
	s_and_saveexec_b64 s[14:15], vcc
	s_cbranch_execz .LBB64_4
; %bb.2:
	s_load_dword s0, s[4:5], 0xc6c
	v_lshlrev_b32_e32 v1, 3, v0
	v_mov_b32_e32 v2, s11
	v_add_co_u32_e32 v4, vcc, s10, v1
	s_waitcnt lgkmcnt(0)
	s_and_b32 s0, s0, 0xffff
	v_addc_co_u32_e32 v1, vcc, 0, v2, vcc
	v_add_lshl_u32 v2, v0, s0, 2
	s_and_b32 s23, 0xffff, s22
	s_lshl_b32 s24, s0, 3
	s_lshl_b32 s25, s0, 2
	s_mov_b64 s[18:19], 0
	v_mov_b32_e32 v5, s17
	v_mov_b32_e32 v8, s7
	s_mov_b64 s[20:21], 0xffff
	v_mov_b32_e32 v9, s1
	v_mov_b32_e32 v10, s1
	v_pk_mov_b32 v[6:7], v[2:3], v[2:3] op_sel:[0,1]
.LBB64_3:                               ; =>This Inner Loop Header: Depth=1
	v_add_co_u32_e32 v12, vcc, s16, v4
	v_addc_co_u32_e32 v13, vcc, v5, v1, vcc
	global_load_ushort v2, v3, s[8:9]
	global_load_dwordx2 v[14:15], v[12:13], off
	v_add_co_u32_e32 v12, vcc, s6, v4
	v_addc_co_u32_e32 v13, vcc, v8, v1, vcc
	v_cmp_le_i64_e32 vcc, s[12:13], v[6:7]
	v_cmp_lt_u64_e64 s[0:1], s[20:21], v[6:7]
	s_or_b64 s[0:1], vcc, s[0:1]
	v_add_co_u32_e64 v4, s[2:3], s24, v4
	v_addc_co_u32_e64 v1, s[2:3], v1, v9, s[2:3]
	v_add_co_u32_e64 v6, s[2:3], s25, v6
	s_and_b64 s[0:1], exec, s[0:1]
	v_addc_co_u32_e64 v7, s[2:3], v7, v10, s[2:3]
	s_or_b64 s[18:19], s[0:1], s[18:19]
	s_waitcnt vmcnt(1)
	v_mul_lo_u32 v2, v2, s23
	v_cvt_f32_i32_sdwa v17, sext(v2) dst_sel:DWORD dst_unused:UNUSED_PAD src0_sel:WORD_0
	s_waitcnt vmcnt(0)
	v_cvt_f32_i32_sdwa v16, sext(v14) dst_sel:DWORD dst_unused:UNUSED_PAD src0_sel:WORD_0
	v_xor_b32_sdwa v11, sext(v14), sext(v2) dst_sel:DWORD dst_unused:UNUSED_PAD src0_sel:WORD_0 src1_sel:WORD_0
	v_xor_b32_sdwa v18, sext(v14), sext(v2) dst_sel:DWORD dst_unused:UNUSED_PAD src0_sel:WORD_1 src1_sel:WORD_0
	v_rcp_iflag_f32_e32 v21, v17
	v_cvt_f32_i32_sdwa v19, sext(v14) dst_sel:DWORD dst_unused:UNUSED_PAD src0_sel:WORD_1
	v_alignbit_b32 v20, v15, v14, 16
	v_ashrrev_i64 v[14:15], 48, v[14:15]
	v_ashrrev_i32_e32 v15, 30, v18
	v_xor_b32_sdwa v18, sext(v20), sext(v2) dst_sel:DWORD dst_unused:UNUSED_PAD src0_sel:WORD_1 src1_sel:WORD_0
	v_cvt_f32_i32_sdwa v20, sext(v20) dst_sel:DWORD dst_unused:UNUSED_PAD src0_sel:WORD_1
	v_xor_b32_sdwa v2, v14, sext(v2) dst_sel:DWORD dst_unused:UNUSED_PAD src0_sel:DWORD src1_sel:WORD_0
	v_cvt_f32_i32_e32 v14, v14
	v_mul_f32_e32 v22, v16, v21
	v_mul_f32_e32 v23, v19, v21
	v_trunc_f32_e32 v22, v22
	v_ashrrev_i32_e32 v11, 30, v11
	v_mul_f32_e32 v24, v20, v21
	v_mul_f32_e32 v21, v14, v21
	v_trunc_f32_e32 v23, v23
	v_mad_f32 v16, -v22, v17, v16
	v_or_b32_e32 v11, 1, v11
	v_trunc_f32_e32 v24, v24
	v_trunc_f32_e32 v21, v21
	v_mad_f32 v19, -v23, v17, v19
	v_cmp_ge_f32_e64 vcc, |v16|, |v17|
	v_or_b32_e32 v15, 1, v15
	v_ashrrev_i32_e32 v18, 30, v18
	v_cvt_i32_f32_e32 v22, v22
	v_cvt_i32_f32_e32 v23, v23
	v_mad_f32 v20, -v24, v17, v20
	v_cvt_i32_f32_e32 v24, v24
	v_mad_f32 v14, -v21, v17, v14
	v_cvt_i32_f32_e32 v21, v21
	v_cndmask_b32_e32 v11, 0, v11, vcc
	v_cmp_ge_f32_e64 vcc, |v19|, |v17|
	v_ashrrev_i32_e32 v2, 30, v2
	v_or_b32_e32 v18, 1, v18
	v_cndmask_b32_e32 v15, 0, v15, vcc
	v_cmp_ge_f32_e64 vcc, |v20|, |v17|
	v_or_b32_e32 v2, 1, v2
	v_cndmask_b32_e32 v16, 0, v18, vcc
	v_cmp_ge_f32_e64 vcc, |v14|, |v17|
	v_cndmask_b32_e32 v2, 0, v2, vcc
	v_add_u32_e32 v11, v22, v11
	v_add_u32_e32 v14, v23, v15
	;; [unrolled: 1-line block ×3, first 2 shown]
	v_add_lshl_u32 v2, v21, v2, 16
	v_or_b32_sdwa v15, v2, v15 dst_sel:DWORD dst_unused:UNUSED_PAD src0_sel:DWORD src1_sel:WORD_0
	v_and_b32_e32 v2, 0xffff, v11
	v_lshl_or_b32 v14, v14, 16, v2
	global_store_dwordx2 v[12:13], v[14:15], off
	s_andn2_b64 exec, exec, s[18:19]
	s_cbranch_execnz .LBB64_3
.LBB64_4:
	s_or_b64 exec, exec, s[14:15]
	s_mov_b64 s[2:3], 0
.LBB64_5:
	s_andn2_b64 vcc, exec, s[2:3]
	s_cbranch_vccnz .LBB64_25
; %bb.6:
	v_cmp_lt_i64_e64 s[0:1], s[12:13], 1
	s_and_b64 vcc, exec, s[0:1]
	s_cbranch_vccnz .LBB64_25
; %bb.7:
	s_load_dword s0, s[4:5], 0xc6c
	v_mov_b32_e32 v4, 0x10000
	v_mov_b32_e32 v5, 0
	v_cmp_lt_u64_e32 vcc, s[12:13], v[4:5]
	v_lshlrev_b32_e32 v2, 1, v0
	s_waitcnt lgkmcnt(0)
	s_and_b32 s2, s0, 0xffff
	s_and_b64 s[0:1], vcc, exec
	v_mov_b32_e32 v15, s17
	v_add_co_u32_e32 v4, vcc, s16, v2
	v_addc_co_u32_e32 v1, vcc, 0, v15, vcc
	v_mov_b32_e32 v3, 0
	v_mov_b32_e32 v17, s7
	v_add_co_u32_e32 v6, vcc, s6, v2
	v_addc_co_u32_e32 v5, vcc, 0, v17, vcc
	v_mad_u64_u32 v[10:11], s[0:1], s2, 6, v[2:3]
	v_add_co_u32_e32 v8, vcc, s16, v10
	v_addc_co_u32_e32 v7, vcc, v15, v11, vcc
	v_add_co_u32_e32 v10, vcc, s6, v10
	s_mul_i32 s4, s2, 3
	v_addc_co_u32_e32 v9, vcc, v17, v11, vcc
	s_cselect_b32 s15, s13, 0
	s_cselect_b32 s14, s12, 0x10000
	s_lshl_b32 s21, s2, 2
	v_add_co_u32_e32 v18, vcc, s4, v0
	v_addc_co_u32_e64 v19, s[0:1], 0, 0, vcc
	v_add_co_u32_e32 v12, vcc, s21, v2
	v_addc_co_u32_e64 v13, s[0:1], 0, 0, vcc
	v_add_co_u32_e32 v2, vcc, s16, v12
	v_addc_co_u32_e32 v11, vcc, v15, v13, vcc
	v_add_co_u32_e32 v12, vcc, s6, v12
	s_lshl_b32 s3, s2, 1
	v_addc_co_u32_e32 v13, vcc, v17, v13, vcc
	v_add_co_u32_e32 v20, vcc, s3, v0
	v_addc_co_u32_e64 v21, s[0:1], 0, 0, vcc
	v_add_co_u32_e32 v22, vcc, s2, v0
	v_lshlrev_b32_e32 v16, 1, v22
	v_addc_co_u32_e64 v23, s[0:1], 0, 0, vcc
	v_add_co_u32_e32 v14, vcc, s16, v16
	v_addc_co_u32_e32 v15, vcc, 0, v15, vcc
	v_add_co_u32_e32 v16, vcc, s6, v16
	s_mov_b32 s20, 0
	s_and_b32 s22, 0xffff, s22
	s_lshl_b32 s23, s2, 3
	v_addc_co_u32_e32 v17, vcc, 0, v17, vcc
	s_mov_b64 s[16:17], 0
	s_branch .LBB64_9
.LBB64_8:                               ;   in Loop: Header=BB64_9 Depth=1
	s_or_b64 exec, exec, s[0:1]
	s_add_u32 s16, s16, s21
	s_addc_u32 s17, s17, 0
	v_pk_mov_b32 v[24:25], s[12:13], s[12:13] op_sel:[0,1]
	v_cmp_ge_i64_e32 vcc, s[16:17], v[24:25]
	v_mov_b32_e32 v24, 0xffff
	v_mov_b32_e32 v25, 0
	v_cmp_gt_u64_e64 s[0:1], s[16:17], v[24:25]
	s_or_b64 s[0:1], vcc, s[0:1]
	v_mov_b32_e32 v24, s20
	v_add_co_u32_e32 v4, vcc, s23, v4
	v_addc_co_u32_e32 v1, vcc, v1, v24, vcc
	v_add_co_u32_e32 v6, vcc, s23, v6
	v_addc_co_u32_e32 v5, vcc, v5, v24, vcc
	v_add_co_u32_e32 v8, vcc, s23, v8
	v_addc_co_u32_e32 v7, vcc, v7, v24, vcc
	v_add_co_u32_e32 v10, vcc, s23, v10
	v_addc_co_u32_e32 v9, vcc, v9, v24, vcc
	v_add_co_u32_e32 v2, vcc, s23, v2
	v_addc_co_u32_e32 v11, vcc, v11, v24, vcc
	v_add_co_u32_e32 v12, vcc, s23, v12
	v_addc_co_u32_e32 v13, vcc, v13, v24, vcc
	v_add_co_u32_e32 v14, vcc, s23, v14
	v_addc_co_u32_e32 v15, vcc, v15, v24, vcc
	v_add_co_u32_e32 v16, vcc, s23, v16
	v_addc_co_u32_e32 v17, vcc, v17, v24, vcc
	s_and_b64 vcc, exec, s[0:1]
	s_cbranch_vccnz .LBB64_25
.LBB64_9:                               ; =>This Inner Loop Header: Depth=1
	v_mov_b32_e32 v25, s17
	v_add_co_u32_e32 v24, vcc, s16, v0
	v_addc_co_u32_e32 v25, vcc, 0, v25, vcc
	v_cmp_gt_u64_e64 s[4:5], s[14:15], v[24:25]
	v_mov_b32_e32 v29, 0
	s_and_saveexec_b64 s[0:1], s[4:5]
	s_cbranch_execz .LBB64_11
; %bb.10:                               ;   in Loop: Header=BB64_9 Depth=1
	v_mov_b32_e32 v25, s11
	v_add_co_u32_e32 v24, vcc, s10, v4
	v_addc_co_u32_e32 v25, vcc, v1, v25, vcc
	global_load_ushort v29, v[24:25], off
.LBB64_11:                              ;   in Loop: Header=BB64_9 Depth=1
	s_or_b64 exec, exec, s[0:1]
	v_mov_b32_e32 v25, s17
	v_add_co_u32_e32 v24, vcc, s16, v22
	v_addc_co_u32_e32 v25, vcc, v23, v25, vcc
	v_cmp_gt_u64_e64 s[2:3], s[14:15], v[24:25]
	v_mov_b32_e32 v24, 0
	v_mov_b32_e32 v30, 0
	s_and_saveexec_b64 s[0:1], s[2:3]
	s_cbranch_execz .LBB64_13
; %bb.12:                               ;   in Loop: Header=BB64_9 Depth=1
	v_mov_b32_e32 v25, s11
	v_add_co_u32_e32 v26, vcc, s10, v14
	v_addc_co_u32_e32 v27, vcc, v15, v25, vcc
	global_load_ushort v30, v[26:27], off
.LBB64_13:                              ;   in Loop: Header=BB64_9 Depth=1
	s_or_b64 exec, exec, s[0:1]
	v_mov_b32_e32 v25, s17
	v_add_co_u32_e32 v26, vcc, s16, v20
	v_addc_co_u32_e32 v27, vcc, v21, v25, vcc
	v_cmp_gt_u64_e64 s[0:1], s[14:15], v[26:27]
	s_and_saveexec_b64 s[6:7], s[0:1]
	s_cbranch_execz .LBB64_15
; %bb.14:                               ;   in Loop: Header=BB64_9 Depth=1
	v_mov_b32_e32 v25, s11
	v_add_co_u32_e32 v24, vcc, s10, v2
	v_addc_co_u32_e32 v25, vcc, v11, v25, vcc
	global_load_ushort v24, v[24:25], off
.LBB64_15:                              ;   in Loop: Header=BB64_9 Depth=1
	s_or_b64 exec, exec, s[6:7]
	v_mov_b32_e32 v25, s17
	v_add_co_u32_e32 v26, vcc, s16, v18
	v_addc_co_u32_e32 v27, vcc, v19, v25, vcc
	v_cmp_gt_u64_e32 vcc, s[14:15], v[26:27]
	v_mov_b32_e32 v25, 0
	s_and_saveexec_b64 s[18:19], vcc
	s_cbranch_execz .LBB64_17
; %bb.16:                               ;   in Loop: Header=BB64_9 Depth=1
	v_mov_b32_e32 v25, s11
	v_add_co_u32_e64 v26, s[6:7], s10, v8
	v_addc_co_u32_e64 v27, s[6:7], v7, v25, s[6:7]
	global_load_ushort v25, v[26:27], off
.LBB64_17:                              ;   in Loop: Header=BB64_9 Depth=1
	s_or_b64 exec, exec, s[18:19]
	global_load_ushort v26, v3, s[8:9]
	s_waitcnt vmcnt(0)
	v_mul_lo_u32 v28, v26, s22
	v_cvt_f32_i32_sdwa v26, sext(v28) dst_sel:DWORD dst_unused:UNUSED_PAD src0_sel:WORD_0
	v_rcp_iflag_f32_e32 v27, v26
	s_and_saveexec_b64 s[6:7], s[4:5]
	s_cbranch_execnz .LBB64_21
; %bb.18:                               ;   in Loop: Header=BB64_9 Depth=1
	s_or_b64 exec, exec, s[6:7]
	v_and_b32_e32 v29, 0x7fffffff, v26
	s_and_saveexec_b64 s[4:5], s[2:3]
	s_cbranch_execnz .LBB64_22
.LBB64_19:                              ;   in Loop: Header=BB64_9 Depth=1
	s_or_b64 exec, exec, s[4:5]
	s_and_saveexec_b64 s[2:3], s[0:1]
	s_cbranch_execnz .LBB64_23
.LBB64_20:                              ;   in Loop: Header=BB64_9 Depth=1
	s_or_b64 exec, exec, s[2:3]
	s_and_saveexec_b64 s[0:1], vcc
	s_cbranch_execz .LBB64_8
	s_branch .LBB64_24
.LBB64_21:                              ;   in Loop: Header=BB64_9 Depth=1
	v_mov_b32_e32 v31, s11
	v_add_co_u32_e64 v32, s[4:5], s10, v6
	v_bfe_i32 v29, v29, 0, 16
	v_addc_co_u32_e64 v33, s[4:5], v5, v31, s[4:5]
	v_cvt_f32_i32_e32 v31, v29
	v_xor_b32_sdwa v29, v29, sext(v28) dst_sel:DWORD dst_unused:UNUSED_PAD src0_sel:DWORD src1_sel:WORD_0
	v_ashrrev_i32_e32 v29, 30, v29
	v_or_b32_e32 v29, 1, v29
	v_mul_f32_e32 v34, v31, v27
	v_trunc_f32_e32 v34, v34
	v_cvt_i32_f32_e32 v35, v34
	v_mad_f32 v31, -v34, v26, v31
	v_cmp_ge_f32_e64 s[4:5], |v31|, |v26|
	v_cndmask_b32_e64 v29, 0, v29, s[4:5]
	v_add_u32_e32 v29, v35, v29
	global_store_short v[32:33], v29, off
	s_or_b64 exec, exec, s[6:7]
	v_and_b32_e32 v29, 0x7fffffff, v26
	s_and_saveexec_b64 s[4:5], s[2:3]
	s_cbranch_execz .LBB64_19
.LBB64_22:                              ;   in Loop: Header=BB64_9 Depth=1
	v_bfe_i32 v30, v30, 0, 16
	v_cvt_f32_i32_e32 v31, v30
	v_xor_b32_sdwa v30, v30, sext(v28) dst_sel:DWORD dst_unused:UNUSED_PAD src0_sel:DWORD src1_sel:WORD_0
	v_ashrrev_i32_e32 v30, 30, v30
	v_or_b32_e32 v30, 1, v30
	v_mul_f32_e32 v32, v31, v27
	v_trunc_f32_e32 v32, v32
	v_cvt_i32_f32_e32 v33, v32
	v_mad_f32 v31, -v32, v26, v31
	v_cmp_ge_f32_e64 s[2:3], |v31|, v29
	v_cndmask_b32_e64 v30, 0, v30, s[2:3]
	v_add_u32_e32 v32, v33, v30
	v_mov_b32_e32 v31, s11
	v_add_co_u32_e64 v30, s[2:3], s10, v16
	v_addc_co_u32_e64 v31, s[2:3], v17, v31, s[2:3]
	global_store_short v[30:31], v32, off
	s_or_b64 exec, exec, s[4:5]
	s_and_saveexec_b64 s[2:3], s[0:1]
	s_cbranch_execz .LBB64_20
.LBB64_23:                              ;   in Loop: Header=BB64_9 Depth=1
	v_bfe_i32 v24, v24, 0, 16
	v_cvt_f32_i32_e32 v30, v24
	v_xor_b32_sdwa v24, v24, sext(v28) dst_sel:DWORD dst_unused:UNUSED_PAD src0_sel:DWORD src1_sel:WORD_0
	v_ashrrev_i32_e32 v24, 30, v24
	v_or_b32_e32 v24, 1, v24
	v_mul_f32_e32 v31, v30, v27
	v_trunc_f32_e32 v31, v31
	v_cvt_i32_f32_e32 v32, v31
	v_mad_f32 v30, -v31, v26, v30
	v_cmp_ge_f32_e64 s[0:1], |v30|, v29
	v_cndmask_b32_e64 v24, 0, v24, s[0:1]
	v_mov_b32_e32 v31, s11
	v_add_co_u32_e64 v30, s[0:1], s10, v12
	v_add_u32_e32 v24, v32, v24
	v_addc_co_u32_e64 v31, s[0:1], v13, v31, s[0:1]
	global_store_short v[30:31], v24, off
	s_or_b64 exec, exec, s[2:3]
	s_and_saveexec_b64 s[0:1], vcc
	s_cbranch_execz .LBB64_8
.LBB64_24:                              ;   in Loop: Header=BB64_9 Depth=1
	v_bfe_i32 v24, v25, 0, 16
	v_cvt_f32_i32_e32 v25, v24
	v_xor_b32_sdwa v24, v24, sext(v28) dst_sel:DWORD dst_unused:UNUSED_PAD src0_sel:DWORD src1_sel:WORD_0
	v_ashrrev_i32_e32 v24, 30, v24
	v_or_b32_e32 v24, 1, v24
	v_mul_f32_e32 v27, v25, v27
	v_trunc_f32_e32 v27, v27
	v_cvt_i32_f32_e32 v28, v27
	v_mad_f32 v25, -v27, v26, v25
	v_cmp_ge_f32_e64 vcc, |v25|, v29
	v_cndmask_b32_e32 v24, 0, v24, vcc
	v_add_u32_e32 v26, v28, v24
	v_mov_b32_e32 v25, s11
	v_add_co_u32_e32 v24, vcc, s10, v10
	v_addc_co_u32_e32 v25, vcc, v9, v25, vcc
	global_store_short v[24:25], v26, off
	s_branch .LBB64_8
.LBB64_25:
	s_endpgm
	.section	.rodata,"a",@progbits
	.p2align	6, 0x0
	.amdhsa_kernel _ZN2at6native12_GLOBAL__N_125multi_tensor_apply_kernelINS1_18TensorListMetadataILi2EEENS1_27BinaryOpScalarTensorFunctorIsLi2ELi1ELi1EEEJSt7dividesIsEPssEEEvT_T0_DpT1_
		.amdhsa_group_segment_fixed_size 0
		.amdhsa_private_segment_fixed_size 0
		.amdhsa_kernarg_size 3424
		.amdhsa_user_sgpr_count 6
		.amdhsa_user_sgpr_private_segment_buffer 1
		.amdhsa_user_sgpr_dispatch_ptr 0
		.amdhsa_user_sgpr_queue_ptr 0
		.amdhsa_user_sgpr_kernarg_segment_ptr 1
		.amdhsa_user_sgpr_dispatch_id 0
		.amdhsa_user_sgpr_flat_scratch_init 0
		.amdhsa_user_sgpr_kernarg_preload_length 0
		.amdhsa_user_sgpr_kernarg_preload_offset 0
		.amdhsa_user_sgpr_private_segment_size 0
		.amdhsa_uses_dynamic_stack 0
		.amdhsa_system_sgpr_private_segment_wavefront_offset 0
		.amdhsa_system_sgpr_workgroup_id_x 1
		.amdhsa_system_sgpr_workgroup_id_y 0
		.amdhsa_system_sgpr_workgroup_id_z 0
		.amdhsa_system_sgpr_workgroup_info 0
		.amdhsa_system_vgpr_workitem_id 0
		.amdhsa_next_free_vgpr 36
		.amdhsa_next_free_sgpr 26
		.amdhsa_accum_offset 36
		.amdhsa_reserve_vcc 1
		.amdhsa_reserve_flat_scratch 0
		.amdhsa_float_round_mode_32 0
		.amdhsa_float_round_mode_16_64 0
		.amdhsa_float_denorm_mode_32 3
		.amdhsa_float_denorm_mode_16_64 3
		.amdhsa_dx10_clamp 1
		.amdhsa_ieee_mode 1
		.amdhsa_fp16_overflow 0
		.amdhsa_tg_split 0
		.amdhsa_exception_fp_ieee_invalid_op 0
		.amdhsa_exception_fp_denorm_src 0
		.amdhsa_exception_fp_ieee_div_zero 0
		.amdhsa_exception_fp_ieee_overflow 0
		.amdhsa_exception_fp_ieee_underflow 0
		.amdhsa_exception_fp_ieee_inexact 0
		.amdhsa_exception_int_div_zero 0
	.end_amdhsa_kernel
	.section	.text._ZN2at6native12_GLOBAL__N_125multi_tensor_apply_kernelINS1_18TensorListMetadataILi2EEENS1_27BinaryOpScalarTensorFunctorIsLi2ELi1ELi1EEEJSt7dividesIsEPssEEEvT_T0_DpT1_,"axG",@progbits,_ZN2at6native12_GLOBAL__N_125multi_tensor_apply_kernelINS1_18TensorListMetadataILi2EEENS1_27BinaryOpScalarTensorFunctorIsLi2ELi1ELi1EEEJSt7dividesIsEPssEEEvT_T0_DpT1_,comdat
.Lfunc_end64:
	.size	_ZN2at6native12_GLOBAL__N_125multi_tensor_apply_kernelINS1_18TensorListMetadataILi2EEENS1_27BinaryOpScalarTensorFunctorIsLi2ELi1ELi1EEEJSt7dividesIsEPssEEEvT_T0_DpT1_, .Lfunc_end64-_ZN2at6native12_GLOBAL__N_125multi_tensor_apply_kernelINS1_18TensorListMetadataILi2EEENS1_27BinaryOpScalarTensorFunctorIsLi2ELi1ELi1EEEJSt7dividesIsEPssEEEvT_T0_DpT1_
                                        ; -- End function
	.section	.AMDGPU.csdata,"",@progbits
; Kernel info:
; codeLenInByte = 1820
; NumSgprs: 30
; NumVgprs: 36
; NumAgprs: 0
; TotalNumVgprs: 36
; ScratchSize: 0
; MemoryBound: 0
; FloatMode: 240
; IeeeMode: 1
; LDSByteSize: 0 bytes/workgroup (compile time only)
; SGPRBlocks: 3
; VGPRBlocks: 4
; NumSGPRsForWavesPerEU: 30
; NumVGPRsForWavesPerEU: 36
; AccumOffset: 36
; Occupancy: 8
; WaveLimiterHint : 0
; COMPUTE_PGM_RSRC2:SCRATCH_EN: 0
; COMPUTE_PGM_RSRC2:USER_SGPR: 6
; COMPUTE_PGM_RSRC2:TRAP_HANDLER: 0
; COMPUTE_PGM_RSRC2:TGID_X_EN: 1
; COMPUTE_PGM_RSRC2:TGID_Y_EN: 0
; COMPUTE_PGM_RSRC2:TGID_Z_EN: 0
; COMPUTE_PGM_RSRC2:TIDIG_COMP_CNT: 0
; COMPUTE_PGM_RSRC3_GFX90A:ACCUM_OFFSET: 8
; COMPUTE_PGM_RSRC3_GFX90A:TG_SPLIT: 0
	.section	.text._ZN2at6native12_GLOBAL__N_125multi_tensor_apply_kernelINS1_18TensorListMetadataILi2EEENS1_27BinaryOpScalarTensorFunctorIdLi2ELi1ELi1EEEJSt7dividesIdEPddEEEvT_T0_DpT1_,"axG",@progbits,_ZN2at6native12_GLOBAL__N_125multi_tensor_apply_kernelINS1_18TensorListMetadataILi2EEENS1_27BinaryOpScalarTensorFunctorIdLi2ELi1ELi1EEEJSt7dividesIdEPddEEEvT_T0_DpT1_,comdat
	.globl	_ZN2at6native12_GLOBAL__N_125multi_tensor_apply_kernelINS1_18TensorListMetadataILi2EEENS1_27BinaryOpScalarTensorFunctorIdLi2ELi1ELi1EEEJSt7dividesIdEPddEEEvT_T0_DpT1_ ; -- Begin function _ZN2at6native12_GLOBAL__N_125multi_tensor_apply_kernelINS1_18TensorListMetadataILi2EEENS1_27BinaryOpScalarTensorFunctorIdLi2ELi1ELi1EEEJSt7dividesIdEPddEEEvT_T0_DpT1_
	.p2align	8
	.type	_ZN2at6native12_GLOBAL__N_125multi_tensor_apply_kernelINS1_18TensorListMetadataILi2EEENS1_27BinaryOpScalarTensorFunctorIdLi2ELi1ELi1EEEJSt7dividesIdEPddEEEvT_T0_DpT1_,@function
_ZN2at6native12_GLOBAL__N_125multi_tensor_apply_kernelINS1_18TensorListMetadataILi2EEENS1_27BinaryOpScalarTensorFunctorIdLi2ELi1ELi1EEEJSt7dividesIdEPddEEEvT_T0_DpT1_: ; @_ZN2at6native12_GLOBAL__N_125multi_tensor_apply_kernelINS1_18TensorListMetadataILi2EEENS1_27BinaryOpScalarTensorFunctorIdLi2ELi1ELi1EEEJSt7dividesIdEPddEEEvT_T0_DpT1_
; %bb.0:
	v_mov_b32_e32 v1, s6
	global_load_ubyte v1, v1, s[4:5] offset:1536
	s_load_dwordx4 s[8:11], s[4:5], 0xc50
	s_add_u32 s0, s4, s6
	s_mul_hi_u32 s2, s6, 3
	s_mul_i32 s6, s6, 3
	s_addc_u32 s7, s5, 0
	s_add_u32 s6, s0, s6
	s_addc_u32 s7, s7, s2
	s_load_dword s6, s[6:7], 0x740
	s_mov_b32 s1, 0
	s_mov_b32 s15, s1
	;; [unrolled: 1-line block ×3, first 2 shown]
	s_waitcnt vmcnt(0)
	v_readfirstlane_b32 s0, v1
	s_lshl_b32 s0, s0, 3
	s_load_dwordx2 s[20:21], s[4:5], s0 offset:0x0
	s_load_dwordx2 s[16:17], s[4:5], s0 offset:0x400
	;; [unrolled: 1-line block ×3, first 2 shown]
	s_waitcnt lgkmcnt(0)
	s_ashr_i32 s7, s6, 31
	s_lshl_b64 s[12:13], s[6:7], 19
	s_add_u32 s26, s20, s12
	s_addc_u32 s27, s21, s13
	s_and_b32 s0, s26, 31
	s_add_u32 s28, s18, s12
	s_addc_u32 s29, s19, s13
	s_and_b32 s14, s16, 3
	s_and_b32 s2, s28, 31
	s_or_b64 s[14:15], s[0:1], s[14:15]
	s_or_b64 s[2:3], s[2:3], s[14:15]
	s_lshl_b64 s[6:7], s[6:7], 16
	s_sub_u32 s14, s16, s6
	s_subb_u32 s15, s17, s7
	s_cmp_eq_u64 s[2:3], 0
	s_mov_b64 s[2:3], -1
	s_cbranch_scc0 .LBB65_5
; %bb.1:
	v_mov_b32_e32 v3, 0
	v_lshlrev_b32_e32 v2, 2, v0
	v_cmp_gt_i64_e32 vcc, s[14:15], v[2:3]
	s_and_saveexec_b64 s[16:17], vcc
	s_cbranch_execz .LBB65_4
; %bb.2:
	s_load_dword s0, s[4:5], 0xc6c
	v_lshlrev_b32_e32 v4, 5, v0
	s_mov_b64 s[22:23], 0
	s_mov_b64 s[24:25], 0xffff
	v_mov_b32_e32 v1, s1
	s_waitcnt lgkmcnt(0)
	s_and_b32 s0, s0, 0xffff
	v_add_lshl_u32 v2, v0, s0, 2
	s_lshl_b32 s30, s0, 2
	s_lshl_b32 s31, s0, 5
	v_pk_mov_b32 v[6:7], v[2:3], v[2:3] op_sel:[0,1]
.LBB65_3:                               ; =>This Inner Loop Header: Depth=1
	v_mov_b32_e32 v2, s27
	global_load_dwordx2 v[16:17], v3, s[8:9]
	v_add_co_u32_e32 v18, vcc, s26, v4
	v_addc_co_u32_e32 v19, vcc, 0, v2, vcc
	global_load_dwordx4 v[8:11], v[18:19], off
	global_load_dwordx4 v[12:15], v[18:19], off offset:16
	v_cmp_le_i64_e32 vcc, s[14:15], v[6:7]
	v_cmp_lt_u64_e64 s[0:1], s[24:25], v[6:7]
	s_or_b64 s[0:1], vcc, s[0:1]
	v_add_co_u32_e64 v6, s[2:3], s30, v6
	s_add_u32 s26, s26, s31
	v_addc_co_u32_e64 v7, s[2:3], v7, v1, s[2:3]
	s_addc_u32 s27, s27, 0
	v_add_co_u32_e64 v18, s[2:3], s28, v4
	s_add_u32 s28, s28, s31
	v_mov_b32_e32 v2, s29
	s_addc_u32 s29, s29, 0
	s_and_b64 s[0:1], exec, s[0:1]
	s_or_b64 s[22:23], s[0:1], s[22:23]
	v_addc_co_u32_e64 v19, s[2:3], 0, v2, s[2:3]
	s_waitcnt vmcnt(2)
	v_mul_f64 v[16:17], v[16:17], s[10:11]
	s_waitcnt vmcnt(1)
	v_div_scale_f64 v[20:21], s[0:1], v[16:17], v[16:17], v[8:9]
	v_div_scale_f64 v[24:25], s[0:1], v[16:17], v[16:17], v[10:11]
	v_rcp_f64_e32 v[36:37], v[20:21]
	s_waitcnt vmcnt(0)
	v_div_scale_f64 v[28:29], s[2:3], v[16:17], v[16:17], v[12:13]
	v_rcp_f64_e32 v[38:39], v[24:25]
	v_div_scale_f64 v[32:33], s[6:7], v[16:17], v[16:17], v[14:15]
	v_rcp_f64_e32 v[40:41], v[28:29]
	v_rcp_f64_e32 v[42:43], v[32:33]
	v_fma_f64 v[44:45], -v[20:21], v[36:37], 1.0
	v_fma_f64 v[46:47], -v[24:25], v[38:39], 1.0
	v_fmac_f64_e32 v[36:37], v[36:37], v[44:45]
	v_fma_f64 v[48:49], -v[28:29], v[40:41], 1.0
	v_fmac_f64_e32 v[38:39], v[38:39], v[46:47]
	v_fma_f64 v[44:45], -v[20:21], v[36:37], 1.0
	v_div_scale_f64 v[22:23], vcc, v[8:9], v[16:17], v[8:9]
	v_fma_f64 v[50:51], -v[32:33], v[42:43], 1.0
	v_fmac_f64_e32 v[40:41], v[40:41], v[48:49]
	v_fma_f64 v[46:47], -v[24:25], v[38:39], 1.0
	v_fmac_f64_e32 v[36:37], v[36:37], v[44:45]
	v_div_scale_f64 v[26:27], s[0:1], v[10:11], v[16:17], v[10:11]
	v_fmac_f64_e32 v[42:43], v[42:43], v[50:51]
	v_fma_f64 v[48:49], -v[28:29], v[40:41], 1.0
	v_fmac_f64_e32 v[38:39], v[38:39], v[46:47]
	v_mul_f64 v[44:45], v[22:23], v[36:37]
	v_div_scale_f64 v[30:31], s[2:3], v[12:13], v[16:17], v[12:13]
	v_fma_f64 v[50:51], -v[32:33], v[42:43], 1.0
	v_fmac_f64_e32 v[40:41], v[40:41], v[48:49]
	v_mul_f64 v[46:47], v[26:27], v[38:39]
	v_fma_f64 v[20:21], -v[20:21], v[44:45], v[22:23]
	v_div_scale_f64 v[34:35], s[6:7], v[14:15], v[16:17], v[14:15]
	v_fmac_f64_e32 v[42:43], v[42:43], v[50:51]
	v_mul_f64 v[48:49], v[30:31], v[40:41]
	v_fma_f64 v[22:23], -v[24:25], v[46:47], v[26:27]
	v_div_fmas_f64 v[20:21], v[20:21], v[36:37], v[44:45]
	s_mov_b64 vcc, s[0:1]
	v_mul_f64 v[50:51], v[34:35], v[42:43]
	v_fma_f64 v[24:25], -v[28:29], v[48:49], v[30:31]
	v_div_fixup_f64 v[8:9], v[20:21], v[16:17], v[8:9]
	v_div_fmas_f64 v[20:21], v[22:23], v[38:39], v[46:47]
	s_mov_b64 vcc, s[2:3]
	v_fma_f64 v[26:27], -v[32:33], v[50:51], v[34:35]
	v_div_fixup_f64 v[10:11], v[20:21], v[16:17], v[10:11]
	v_div_fmas_f64 v[20:21], v[24:25], v[40:41], v[48:49]
	s_mov_b64 vcc, s[6:7]
	v_div_fixup_f64 v[12:13], v[20:21], v[16:17], v[12:13]
	v_div_fmas_f64 v[20:21], v[26:27], v[42:43], v[50:51]
	v_div_fixup_f64 v[14:15], v[20:21], v[16:17], v[14:15]
	global_store_dwordx4 v[18:19], v[8:11], off
	global_store_dwordx4 v[18:19], v[12:15], off offset:16
	s_andn2_b64 exec, exec, s[22:23]
	s_cbranch_execnz .LBB65_3
.LBB65_4:
	s_or_b64 exec, exec, s[16:17]
	s_mov_b64 s[2:3], 0
.LBB65_5:
	s_andn2_b64 vcc, exec, s[2:3]
	s_cbranch_vccnz .LBB65_25
; %bb.6:
	v_cmp_lt_i64_e64 s[0:1], s[14:15], 1
	s_and_b64 vcc, exec, s[0:1]
	s_cbranch_vccnz .LBB65_25
; %bb.7:
	s_load_dword s0, s[4:5], 0xc6c
	v_mov_b32_e32 v4, 0x10000
	v_mov_b32_e32 v5, 0
	v_cmp_lt_u64_e32 vcc, s[14:15], v[4:5]
	v_lshlrev_b32_e32 v2, 3, v0
	s_waitcnt lgkmcnt(0)
	s_and_b32 s2, s0, 0xffff
	s_and_b64 s[0:1], vcc, exec
	v_mov_b32_e32 v15, s21
	v_add_co_u32_e32 v4, vcc, s20, v2
	v_addc_co_u32_e32 v1, vcc, 0, v15, vcc
	v_mov_b32_e32 v3, 0
	v_mov_b32_e32 v17, s19
	v_add_co_u32_e32 v6, vcc, s18, v2
	v_addc_co_u32_e32 v5, vcc, 0, v17, vcc
	v_mad_u64_u32 v[10:11], s[0:1], s2, 24, v[2:3]
	v_add_co_u32_e32 v8, vcc, s20, v10
	v_addc_co_u32_e32 v7, vcc, v15, v11, vcc
	v_add_co_u32_e32 v10, vcc, s18, v10
	s_mul_i32 s4, s2, 3
	v_addc_co_u32_e32 v9, vcc, v17, v11, vcc
	v_add_co_u32_e32 v28, vcc, s4, v0
	v_addc_co_u32_e64 v29, s[0:1], 0, 0, vcc
	s_cselect_b32 s17, s15, 0
	s_cselect_b32 s16, s14, 0x10000
	s_lshl_b32 s0, s2, 4
	v_add_co_u32_e32 v12, vcc, s0, v2
	v_addc_co_u32_e64 v13, s[0:1], 0, 0, vcc
	v_add_co_u32_e32 v2, vcc, s20, v12
	v_addc_co_u32_e32 v11, vcc, v15, v13, vcc
	v_add_co_u32_e32 v12, vcc, s18, v12
	s_lshl_b32 s3, s2, 1
	v_addc_co_u32_e32 v13, vcc, v17, v13, vcc
	v_add_co_u32_e32 v30, vcc, s3, v0
	v_addc_co_u32_e64 v31, s[0:1], 0, 0, vcc
	v_add_co_u32_e32 v32, vcc, s2, v0
	v_lshlrev_b32_e32 v16, 3, v32
	v_addc_co_u32_e64 v33, s[0:1], 0, 0, vcc
	v_add_co_u32_e32 v14, vcc, s20, v16
	v_addc_co_u32_e32 v15, vcc, 0, v15, vcc
	v_add_co_u32_e32 v16, vcc, s18, v16
	s_mov_b32 s22, 0
	s_lshl_b32 s23, s2, 2
	s_lshl_b32 s24, s2, 5
	v_addc_co_u32_e32 v17, vcc, 0, v17, vcc
	s_mov_b64 s[18:19], 0
	s_branch .LBB65_9
.LBB65_8:                               ;   in Loop: Header=BB65_9 Depth=1
	s_or_b64 exec, exec, s[2:3]
	s_add_u32 s18, s18, s23
	s_addc_u32 s19, s19, 0
	v_pk_mov_b32 v[18:19], s[14:15], s[14:15] op_sel:[0,1]
	v_cmp_ge_i64_e32 vcc, s[18:19], v[18:19]
	v_mov_b32_e32 v18, 0xffff
	v_mov_b32_e32 v19, 0
	v_cmp_gt_u64_e64 s[0:1], s[18:19], v[18:19]
	s_or_b64 s[0:1], vcc, s[0:1]
	v_mov_b32_e32 v18, s22
	v_add_co_u32_e32 v4, vcc, s24, v4
	v_addc_co_u32_e32 v1, vcc, v1, v18, vcc
	v_add_co_u32_e32 v6, vcc, s24, v6
	v_addc_co_u32_e32 v5, vcc, v5, v18, vcc
	;; [unrolled: 2-line block ×8, first 2 shown]
	s_and_b64 vcc, exec, s[0:1]
	s_cbranch_vccnz .LBB65_25
.LBB65_9:                               ; =>This Inner Loop Header: Depth=1
	v_mov_b32_e32 v19, s19
	v_add_co_u32_e32 v18, vcc, s18, v0
	v_addc_co_u32_e32 v19, vcc, 0, v19, vcc
	v_pk_mov_b32 v[20:21], 0, 0
	v_cmp_gt_u64_e32 vcc, s[16:17], v[18:19]
	v_pk_mov_b32 v[26:27], v[20:21], v[20:21] op_sel:[0,1]
	s_and_saveexec_b64 s[2:3], vcc
	s_cbranch_execz .LBB65_11
; %bb.10:                               ;   in Loop: Header=BB65_9 Depth=1
	v_mov_b32_e32 v19, s13
	v_add_co_u32_e64 v18, s[0:1], s12, v4
	v_addc_co_u32_e64 v19, s[0:1], v1, v19, s[0:1]
	global_load_dwordx2 v[26:27], v[18:19], off
.LBB65_11:                              ;   in Loop: Header=BB65_9 Depth=1
	s_or_b64 exec, exec, s[2:3]
	v_mov_b32_e32 v19, s19
	v_add_co_u32_e64 v18, s[0:1], s18, v32
	v_addc_co_u32_e64 v19, s[0:1], v33, v19, s[0:1]
	v_cmp_gt_u64_e64 s[4:5], s[16:17], v[18:19]
	s_and_saveexec_b64 s[2:3], s[4:5]
	s_cbranch_execz .LBB65_13
; %bb.12:                               ;   in Loop: Header=BB65_9 Depth=1
	v_mov_b32_e32 v19, s13
	v_add_co_u32_e64 v18, s[0:1], s12, v14
	v_addc_co_u32_e64 v19, s[0:1], v15, v19, s[0:1]
	global_load_dwordx2 v[20:21], v[18:19], off
.LBB65_13:                              ;   in Loop: Header=BB65_9 Depth=1
	s_or_b64 exec, exec, s[2:3]
	v_mov_b32_e32 v19, s19
	v_add_co_u32_e64 v18, s[0:1], s18, v30
	v_addc_co_u32_e64 v19, s[0:1], v31, v19, s[0:1]
	v_cmp_gt_u64_e64 s[2:3], s[16:17], v[18:19]
	v_pk_mov_b32 v[18:19], 0, 0
	v_pk_mov_b32 v[22:23], v[18:19], v[18:19] op_sel:[0,1]
	s_and_saveexec_b64 s[6:7], s[2:3]
	s_cbranch_execz .LBB65_15
; %bb.14:                               ;   in Loop: Header=BB65_9 Depth=1
	v_mov_b32_e32 v23, s13
	v_add_co_u32_e64 v22, s[0:1], s12, v2
	v_addc_co_u32_e64 v23, s[0:1], v11, v23, s[0:1]
	global_load_dwordx2 v[22:23], v[22:23], off
.LBB65_15:                              ;   in Loop: Header=BB65_9 Depth=1
	s_or_b64 exec, exec, s[6:7]
	v_mov_b32_e32 v25, s19
	v_add_co_u32_e64 v24, s[0:1], s18, v28
	v_addc_co_u32_e64 v25, s[0:1], v29, v25, s[0:1]
	v_cmp_gt_u64_e64 s[0:1], s[16:17], v[24:25]
	s_and_saveexec_b64 s[20:21], s[0:1]
	s_cbranch_execz .LBB65_17
; %bb.16:                               ;   in Loop: Header=BB65_9 Depth=1
	v_mov_b32_e32 v19, s13
	v_add_co_u32_e64 v18, s[6:7], s12, v8
	v_addc_co_u32_e64 v19, s[6:7], v7, v19, s[6:7]
	global_load_dwordx2 v[18:19], v[18:19], off
.LBB65_17:                              ;   in Loop: Header=BB65_9 Depth=1
	s_or_b64 exec, exec, s[20:21]
	global_load_dwordx2 v[24:25], v3, s[8:9]
	s_waitcnt vmcnt(0)
	v_mul_f64 v[24:25], v[24:25], s[10:11]
	s_and_saveexec_b64 s[6:7], vcc
	s_cbranch_execnz .LBB65_21
; %bb.18:                               ;   in Loop: Header=BB65_9 Depth=1
	s_or_b64 exec, exec, s[6:7]
	s_and_saveexec_b64 s[6:7], s[4:5]
	s_cbranch_execnz .LBB65_22
.LBB65_19:                              ;   in Loop: Header=BB65_9 Depth=1
	s_or_b64 exec, exec, s[6:7]
	s_and_saveexec_b64 s[4:5], s[2:3]
	s_cbranch_execnz .LBB65_23
.LBB65_20:                              ;   in Loop: Header=BB65_9 Depth=1
	s_or_b64 exec, exec, s[4:5]
	s_and_saveexec_b64 s[2:3], s[0:1]
	s_cbranch_execz .LBB65_8
	s_branch .LBB65_24
.LBB65_21:                              ;   in Loop: Header=BB65_9 Depth=1
	v_div_scale_f64 v[34:35], s[20:21], v[24:25], v[24:25], v[26:27]
	v_rcp_f64_e32 v[36:37], v[34:35]
	v_div_scale_f64 v[38:39], vcc, v[26:27], v[24:25], v[26:27]
	v_fma_f64 v[40:41], -v[34:35], v[36:37], 1.0
	v_fmac_f64_e32 v[36:37], v[36:37], v[40:41]
	v_fma_f64 v[40:41], -v[34:35], v[36:37], 1.0
	v_fmac_f64_e32 v[36:37], v[36:37], v[40:41]
	v_mul_f64 v[40:41], v[38:39], v[36:37]
	v_fma_f64 v[34:35], -v[34:35], v[40:41], v[38:39]
	v_div_fmas_f64 v[34:35], v[34:35], v[36:37], v[40:41]
	v_div_fixup_f64 v[26:27], v[34:35], v[24:25], v[26:27]
	v_mov_b32_e32 v35, s13
	v_add_co_u32_e32 v34, vcc, s12, v6
	v_addc_co_u32_e32 v35, vcc, v5, v35, vcc
	global_store_dwordx2 v[34:35], v[26:27], off
	s_or_b64 exec, exec, s[6:7]
	s_and_saveexec_b64 s[6:7], s[4:5]
	s_cbranch_execz .LBB65_19
.LBB65_22:                              ;   in Loop: Header=BB65_9 Depth=1
	v_div_scale_f64 v[26:27], s[4:5], v[24:25], v[24:25], v[20:21]
	v_rcp_f64_e32 v[34:35], v[26:27]
	v_div_scale_f64 v[36:37], vcc, v[20:21], v[24:25], v[20:21]
	v_fma_f64 v[38:39], -v[26:27], v[34:35], 1.0
	v_fmac_f64_e32 v[34:35], v[34:35], v[38:39]
	v_fma_f64 v[38:39], -v[26:27], v[34:35], 1.0
	v_fmac_f64_e32 v[34:35], v[34:35], v[38:39]
	v_mul_f64 v[38:39], v[36:37], v[34:35]
	v_fma_f64 v[26:27], -v[26:27], v[38:39], v[36:37]
	v_div_fmas_f64 v[26:27], v[26:27], v[34:35], v[38:39]
	v_div_fixup_f64 v[20:21], v[26:27], v[24:25], v[20:21]
	v_mov_b32_e32 v27, s13
	v_add_co_u32_e32 v26, vcc, s12, v16
	v_addc_co_u32_e32 v27, vcc, v17, v27, vcc
	global_store_dwordx2 v[26:27], v[20:21], off
	s_or_b64 exec, exec, s[6:7]
	s_and_saveexec_b64 s[4:5], s[2:3]
	s_cbranch_execz .LBB65_20
.LBB65_23:                              ;   in Loop: Header=BB65_9 Depth=1
	v_div_scale_f64 v[20:21], s[2:3], v[24:25], v[24:25], v[22:23]
	v_rcp_f64_e32 v[26:27], v[20:21]
	v_div_scale_f64 v[34:35], vcc, v[22:23], v[24:25], v[22:23]
	v_fma_f64 v[36:37], -v[20:21], v[26:27], 1.0
	v_fmac_f64_e32 v[26:27], v[26:27], v[36:37]
	v_fma_f64 v[36:37], -v[20:21], v[26:27], 1.0
	v_fmac_f64_e32 v[26:27], v[26:27], v[36:37]
	v_mul_f64 v[36:37], v[34:35], v[26:27]
	v_fma_f64 v[20:21], -v[20:21], v[36:37], v[34:35]
	v_div_fmas_f64 v[20:21], v[20:21], v[26:27], v[36:37]
	v_div_fixup_f64 v[20:21], v[20:21], v[24:25], v[22:23]
	v_mov_b32_e32 v23, s13
	v_add_co_u32_e32 v22, vcc, s12, v12
	v_addc_co_u32_e32 v23, vcc, v13, v23, vcc
	global_store_dwordx2 v[22:23], v[20:21], off
	s_or_b64 exec, exec, s[4:5]
	s_and_saveexec_b64 s[2:3], s[0:1]
	s_cbranch_execz .LBB65_8
.LBB65_24:                              ;   in Loop: Header=BB65_9 Depth=1
	v_div_scale_f64 v[20:21], s[0:1], v[24:25], v[24:25], v[18:19]
	v_rcp_f64_e32 v[22:23], v[20:21]
	v_div_scale_f64 v[26:27], vcc, v[18:19], v[24:25], v[18:19]
	v_fma_f64 v[34:35], -v[20:21], v[22:23], 1.0
	v_fmac_f64_e32 v[22:23], v[22:23], v[34:35]
	v_fma_f64 v[34:35], -v[20:21], v[22:23], 1.0
	v_fmac_f64_e32 v[22:23], v[22:23], v[34:35]
	v_mul_f64 v[34:35], v[26:27], v[22:23]
	v_fma_f64 v[20:21], -v[20:21], v[34:35], v[26:27]
	v_div_fmas_f64 v[20:21], v[20:21], v[22:23], v[34:35]
	v_div_fixup_f64 v[18:19], v[20:21], v[24:25], v[18:19]
	v_mov_b32_e32 v21, s13
	v_add_co_u32_e32 v20, vcc, s12, v10
	v_addc_co_u32_e32 v21, vcc, v9, v21, vcc
	global_store_dwordx2 v[20:21], v[18:19], off
	s_branch .LBB65_8
.LBB65_25:
	s_endpgm
	.section	.rodata,"a",@progbits
	.p2align	6, 0x0
	.amdhsa_kernel _ZN2at6native12_GLOBAL__N_125multi_tensor_apply_kernelINS1_18TensorListMetadataILi2EEENS1_27BinaryOpScalarTensorFunctorIdLi2ELi1ELi1EEEJSt7dividesIdEPddEEEvT_T0_DpT1_
		.amdhsa_group_segment_fixed_size 0
		.amdhsa_private_segment_fixed_size 0
		.amdhsa_kernarg_size 3424
		.amdhsa_user_sgpr_count 6
		.amdhsa_user_sgpr_private_segment_buffer 1
		.amdhsa_user_sgpr_dispatch_ptr 0
		.amdhsa_user_sgpr_queue_ptr 0
		.amdhsa_user_sgpr_kernarg_segment_ptr 1
		.amdhsa_user_sgpr_dispatch_id 0
		.amdhsa_user_sgpr_flat_scratch_init 0
		.amdhsa_user_sgpr_kernarg_preload_length 0
		.amdhsa_user_sgpr_kernarg_preload_offset 0
		.amdhsa_user_sgpr_private_segment_size 0
		.amdhsa_uses_dynamic_stack 0
		.amdhsa_system_sgpr_private_segment_wavefront_offset 0
		.amdhsa_system_sgpr_workgroup_id_x 1
		.amdhsa_system_sgpr_workgroup_id_y 0
		.amdhsa_system_sgpr_workgroup_id_z 0
		.amdhsa_system_sgpr_workgroup_info 0
		.amdhsa_system_vgpr_workitem_id 0
		.amdhsa_next_free_vgpr 52
		.amdhsa_next_free_sgpr 32
		.amdhsa_accum_offset 52
		.amdhsa_reserve_vcc 1
		.amdhsa_reserve_flat_scratch 0
		.amdhsa_float_round_mode_32 0
		.amdhsa_float_round_mode_16_64 0
		.amdhsa_float_denorm_mode_32 3
		.amdhsa_float_denorm_mode_16_64 3
		.amdhsa_dx10_clamp 1
		.amdhsa_ieee_mode 1
		.amdhsa_fp16_overflow 0
		.amdhsa_tg_split 0
		.amdhsa_exception_fp_ieee_invalid_op 0
		.amdhsa_exception_fp_denorm_src 0
		.amdhsa_exception_fp_ieee_div_zero 0
		.amdhsa_exception_fp_ieee_overflow 0
		.amdhsa_exception_fp_ieee_underflow 0
		.amdhsa_exception_fp_ieee_inexact 0
		.amdhsa_exception_int_div_zero 0
	.end_amdhsa_kernel
	.section	.text._ZN2at6native12_GLOBAL__N_125multi_tensor_apply_kernelINS1_18TensorListMetadataILi2EEENS1_27BinaryOpScalarTensorFunctorIdLi2ELi1ELi1EEEJSt7dividesIdEPddEEEvT_T0_DpT1_,"axG",@progbits,_ZN2at6native12_GLOBAL__N_125multi_tensor_apply_kernelINS1_18TensorListMetadataILi2EEENS1_27BinaryOpScalarTensorFunctorIdLi2ELi1ELi1EEEJSt7dividesIdEPddEEEvT_T0_DpT1_,comdat
.Lfunc_end65:
	.size	_ZN2at6native12_GLOBAL__N_125multi_tensor_apply_kernelINS1_18TensorListMetadataILi2EEENS1_27BinaryOpScalarTensorFunctorIdLi2ELi1ELi1EEEJSt7dividesIdEPddEEEvT_T0_DpT1_, .Lfunc_end65-_ZN2at6native12_GLOBAL__N_125multi_tensor_apply_kernelINS1_18TensorListMetadataILi2EEENS1_27BinaryOpScalarTensorFunctorIdLi2ELi1ELi1EEEJSt7dividesIdEPddEEEvT_T0_DpT1_
                                        ; -- End function
	.section	.AMDGPU.csdata,"",@progbits
; Kernel info:
; codeLenInByte = 1896
; NumSgprs: 36
; NumVgprs: 52
; NumAgprs: 0
; TotalNumVgprs: 52
; ScratchSize: 0
; MemoryBound: 0
; FloatMode: 240
; IeeeMode: 1
; LDSByteSize: 0 bytes/workgroup (compile time only)
; SGPRBlocks: 4
; VGPRBlocks: 6
; NumSGPRsForWavesPerEU: 36
; NumVGPRsForWavesPerEU: 52
; AccumOffset: 52
; Occupancy: 8
; WaveLimiterHint : 0
; COMPUTE_PGM_RSRC2:SCRATCH_EN: 0
; COMPUTE_PGM_RSRC2:USER_SGPR: 6
; COMPUTE_PGM_RSRC2:TRAP_HANDLER: 0
; COMPUTE_PGM_RSRC2:TGID_X_EN: 1
; COMPUTE_PGM_RSRC2:TGID_Y_EN: 0
; COMPUTE_PGM_RSRC2:TGID_Z_EN: 0
; COMPUTE_PGM_RSRC2:TIDIG_COMP_CNT: 0
; COMPUTE_PGM_RSRC3_GFX90A:ACCUM_OFFSET: 12
; COMPUTE_PGM_RSRC3_GFX90A:TG_SPLIT: 0
	.section	.text._ZN2at6native12_GLOBAL__N_125multi_tensor_apply_kernelINS1_18TensorListMetadataILi2EEENS1_27BinaryOpScalarTensorFunctorIfLi2ELi1ELi1EEEJSt7dividesIfEPffEEEvT_T0_DpT1_,"axG",@progbits,_ZN2at6native12_GLOBAL__N_125multi_tensor_apply_kernelINS1_18TensorListMetadataILi2EEENS1_27BinaryOpScalarTensorFunctorIfLi2ELi1ELi1EEEJSt7dividesIfEPffEEEvT_T0_DpT1_,comdat
	.globl	_ZN2at6native12_GLOBAL__N_125multi_tensor_apply_kernelINS1_18TensorListMetadataILi2EEENS1_27BinaryOpScalarTensorFunctorIfLi2ELi1ELi1EEEJSt7dividesIfEPffEEEvT_T0_DpT1_ ; -- Begin function _ZN2at6native12_GLOBAL__N_125multi_tensor_apply_kernelINS1_18TensorListMetadataILi2EEENS1_27BinaryOpScalarTensorFunctorIfLi2ELi1ELi1EEEJSt7dividesIfEPffEEEvT_T0_DpT1_
	.p2align	8
	.type	_ZN2at6native12_GLOBAL__N_125multi_tensor_apply_kernelINS1_18TensorListMetadataILi2EEENS1_27BinaryOpScalarTensorFunctorIfLi2ELi1ELi1EEEJSt7dividesIfEPffEEEvT_T0_DpT1_,@function
_ZN2at6native12_GLOBAL__N_125multi_tensor_apply_kernelINS1_18TensorListMetadataILi2EEENS1_27BinaryOpScalarTensorFunctorIfLi2ELi1ELi1EEEJSt7dividesIfEPffEEEvT_T0_DpT1_: ; @_ZN2at6native12_GLOBAL__N_125multi_tensor_apply_kernelINS1_18TensorListMetadataILi2EEENS1_27BinaryOpScalarTensorFunctorIfLi2ELi1ELi1EEEJSt7dividesIfEPffEEEvT_T0_DpT1_
; %bb.0:
	v_mov_b32_e32 v1, s6
	global_load_ubyte v1, v1, s[4:5] offset:1536
	s_load_dword s24, s[4:5], 0xc58
	s_add_u32 s0, s4, s6
	s_mul_hi_u32 s2, s6, 3
	s_mul_i32 s6, s6, 3
	s_addc_u32 s7, s5, 0
	s_add_u32 s6, s0, s6
	s_addc_u32 s7, s7, s2
	s_load_dword s6, s[6:7], 0x740
	s_mov_b32 s1, 0
	s_mov_b32 s15, s1
	;; [unrolled: 1-line block ×3, first 2 shown]
	s_waitcnt lgkmcnt(0)
	s_ashr_i32 s7, s6, 31
	s_lshl_b64 s[10:11], s[6:7], 18
	s_lshl_b64 s[6:7], s[6:7], 16
	s_waitcnt vmcnt(0)
	v_readfirstlane_b32 s0, v1
	s_lshl_b32 s0, s0, 3
	s_load_dwordx2 s[18:19], s[4:5], s0 offset:0x0
	s_load_dwordx2 s[8:9], s[4:5], 0xc50
	s_load_dwordx2 s[12:13], s[4:5], s0 offset:0x400
	s_load_dwordx2 s[16:17], s[4:5], s0 offset:0x200
	s_waitcnt lgkmcnt(0)
	s_and_b32 s0, s18, 15
	s_and_b32 s14, s12, 3
	;; [unrolled: 1-line block ×3, first 2 shown]
	s_or_b64 s[14:15], s[0:1], s[14:15]
	s_or_b64 s[2:3], s[2:3], s[14:15]
	s_sub_u32 s12, s12, s6
	s_subb_u32 s13, s13, s7
	s_cmp_eq_u64 s[2:3], 0
	s_mov_b64 s[2:3], -1
	s_cbranch_scc0 .LBB66_5
; %bb.1:
	v_mov_b32_e32 v3, 0
	v_lshlrev_b32_e32 v2, 2, v0
	v_cmp_gt_i64_e32 vcc, s[12:13], v[2:3]
	s_and_saveexec_b64 s[14:15], vcc
	s_cbranch_execz .LBB66_4
; %bb.2:
	s_load_dword s0, s[4:5], 0xc6c
	v_lshlrev_b32_e32 v1, 4, v0
	v_mov_b32_e32 v4, s11
	v_add_co_u32_e32 v1, vcc, s10, v1
	s_waitcnt lgkmcnt(0)
	s_and_b32 s0, s0, 0xffff
	v_addc_co_u32_e32 v5, vcc, 0, v4, vcc
	v_add_lshl_u32 v2, v0, s0, 2
	v_add_co_u32_e32 v4, vcc, 8, v1
	s_lshl_b32 s25, s0, 2
	v_addc_co_u32_e32 v1, vcc, 0, v5, vcc
	s_lshl_b32 s26, s0, 4
	s_mov_b64 s[20:21], 0
	v_mov_b32_e32 v5, s19
	v_mov_b32_e32 v8, s17
	s_mov_b64 s[22:23], 0xffff
	v_mov_b32_e32 v9, s1
	v_mov_b32_e32 v10, s1
	v_pk_mov_b32 v[6:7], v[2:3], v[2:3] op_sel:[0,1]
.LBB66_3:                               ; =>This Inner Loop Header: Depth=1
	v_add_co_u32_e32 v12, vcc, s18, v4
	global_load_dword v2, v3, s[8:9]
	v_addc_co_u32_e32 v13, vcc, v5, v1, vcc
	global_load_dwordx4 v[12:15], v[12:13], off offset:-8
	v_add_co_u32_e32 v16, vcc, s16, v4
	v_addc_co_u32_e32 v17, vcc, v8, v1, vcc
	v_cmp_le_i64_e32 vcc, s[12:13], v[6:7]
	v_cmp_lt_u64_e64 s[0:1], s[22:23], v[6:7]
	s_or_b64 s[0:1], vcc, s[0:1]
	v_add_co_u32_e64 v6, s[2:3], s25, v6
	s_and_b64 s[0:1], exec, s[0:1]
	v_addc_co_u32_e64 v7, s[2:3], v7, v9, s[2:3]
	s_or_b64 s[20:21], s[0:1], s[20:21]
	v_add_co_u32_e64 v4, s[2:3], s26, v4
	v_addc_co_u32_e64 v1, s[2:3], v1, v10, s[2:3]
	s_waitcnt vmcnt(1)
	v_mul_f32_e32 v2, s24, v2
	s_waitcnt vmcnt(0)
	v_div_scale_f32 v11, s[0:1], v2, v2, v13
	v_div_scale_f32 v19, s[0:1], v2, v2, v12
	v_rcp_f32_e32 v25, v11
	v_div_scale_f32 v21, s[2:3], v2, v2, v15
	v_rcp_f32_e32 v26, v19
	;; [unrolled: 2-line block ×3, first 2 shown]
	v_rcp_f32_e32 v28, v23
	v_fma_f32 v29, -v11, v25, 1.0
	v_div_scale_f32 v18, vcc, v13, v2, v13
	v_fma_f32 v30, -v19, v26, 1.0
	v_fmac_f32_e32 v25, v29, v25
	v_div_scale_f32 v20, s[0:1], v12, v2, v12
	v_fma_f32 v31, -v21, v27, 1.0
	v_fmac_f32_e32 v26, v30, v26
	v_mul_f32_e32 v29, v18, v25
	v_div_scale_f32 v22, s[2:3], v15, v2, v15
	v_fma_f32 v32, -v23, v28, 1.0
	v_fmac_f32_e32 v27, v31, v27
	v_mul_f32_e32 v30, v20, v26
	v_fma_f32 v33, -v11, v29, v18
	v_div_scale_f32 v24, s[6:7], v14, v2, v14
	v_fmac_f32_e32 v28, v32, v28
	v_mul_f32_e32 v31, v22, v27
	v_fma_f32 v34, -v19, v30, v20
	v_fmac_f32_e32 v29, v33, v25
	v_mul_f32_e32 v32, v24, v28
	v_fma_f32 v35, -v21, v31, v22
	v_fmac_f32_e32 v30, v34, v26
	v_fma_f32 v11, -v11, v29, v18
	v_fma_f32 v36, -v23, v32, v24
	v_fmac_f32_e32 v31, v35, v27
	v_fma_f32 v18, -v19, v30, v20
	v_div_fmas_f32 v11, v11, v25, v29
	s_mov_b64 vcc, s[0:1]
	v_fmac_f32_e32 v32, v36, v28
	v_fma_f32 v19, -v21, v31, v22
	v_div_fixup_f32 v13, v11, v2, v13
	v_div_fmas_f32 v11, v18, v26, v30
	s_mov_b64 vcc, s[2:3]
	v_fma_f32 v20, -v23, v32, v24
	v_div_fixup_f32 v12, v11, v2, v12
	v_div_fmas_f32 v11, v19, v27, v31
	s_mov_b64 vcc, s[6:7]
	v_div_fixup_f32 v15, v11, v2, v15
	v_div_fmas_f32 v11, v20, v28, v32
	v_div_fixup_f32 v14, v11, v2, v14
	global_store_dwordx4 v[16:17], v[12:15], off offset:-8
	s_andn2_b64 exec, exec, s[20:21]
	s_cbranch_execnz .LBB66_3
.LBB66_4:
	s_or_b64 exec, exec, s[14:15]
	s_mov_b64 s[2:3], 0
.LBB66_5:
	s_andn2_b64 vcc, exec, s[2:3]
	s_cbranch_vccnz .LBB66_25
; %bb.6:
	v_cmp_lt_i64_e64 s[0:1], s[12:13], 1
	s_and_b64 vcc, exec, s[0:1]
	s_cbranch_vccnz .LBB66_25
; %bb.7:
	s_load_dword s0, s[4:5], 0xc6c
	v_mov_b32_e32 v4, 0x10000
	v_mov_b32_e32 v5, 0
	v_cmp_lt_u64_e32 vcc, s[12:13], v[4:5]
	v_lshlrev_b32_e32 v2, 2, v0
	s_waitcnt lgkmcnt(0)
	s_and_b32 s2, s0, 0xffff
	s_and_b64 s[0:1], vcc, exec
	v_mov_b32_e32 v15, s19
	v_add_co_u32_e32 v4, vcc, s18, v2
	v_addc_co_u32_e32 v1, vcc, 0, v15, vcc
	v_mov_b32_e32 v3, 0
	v_mov_b32_e32 v17, s17
	v_add_co_u32_e32 v6, vcc, s16, v2
	v_addc_co_u32_e32 v5, vcc, 0, v17, vcc
	v_mad_u64_u32 v[10:11], s[0:1], s2, 12, v[2:3]
	v_add_co_u32_e32 v8, vcc, s18, v10
	v_addc_co_u32_e32 v7, vcc, v15, v11, vcc
	v_add_co_u32_e32 v10, vcc, s16, v10
	s_mul_i32 s4, s2, 3
	v_addc_co_u32_e32 v9, vcc, v17, v11, vcc
	v_add_co_u32_e32 v18, vcc, s4, v0
	v_addc_co_u32_e64 v19, s[0:1], 0, 0, vcc
	s_cselect_b32 s15, s13, 0
	s_cselect_b32 s14, s12, 0x10000
	s_lshl_b32 s0, s2, 3
	v_add_co_u32_e32 v12, vcc, s0, v2
	v_addc_co_u32_e64 v13, s[0:1], 0, 0, vcc
	v_add_co_u32_e32 v2, vcc, s18, v12
	v_addc_co_u32_e32 v11, vcc, v15, v13, vcc
	v_add_co_u32_e32 v12, vcc, s16, v12
	s_lshl_b32 s3, s2, 1
	v_addc_co_u32_e32 v13, vcc, v17, v13, vcc
	v_add_co_u32_e32 v20, vcc, s3, v0
	v_addc_co_u32_e64 v21, s[0:1], 0, 0, vcc
	v_add_co_u32_e32 v22, vcc, s2, v0
	v_lshlrev_b32_e32 v16, 2, v22
	v_addc_co_u32_e64 v23, s[0:1], 0, 0, vcc
	v_add_co_u32_e32 v14, vcc, s18, v16
	v_addc_co_u32_e32 v15, vcc, 0, v15, vcc
	v_add_co_u32_e32 v16, vcc, s16, v16
	s_mov_b32 s20, 0
	s_lshl_b32 s21, s2, 2
	s_lshl_b32 s22, s2, 4
	v_addc_co_u32_e32 v17, vcc, 0, v17, vcc
	s_mov_b64 s[16:17], 0
	s_branch .LBB66_9
.LBB66_8:                               ;   in Loop: Header=BB66_9 Depth=1
	s_or_b64 exec, exec, s[2:3]
	s_add_u32 s16, s16, s21
	s_addc_u32 s17, s17, 0
	v_pk_mov_b32 v[24:25], s[12:13], s[12:13] op_sel:[0,1]
	v_cmp_ge_i64_e32 vcc, s[16:17], v[24:25]
	v_mov_b32_e32 v24, 0xffff
	v_mov_b32_e32 v25, 0
	v_cmp_gt_u64_e64 s[0:1], s[16:17], v[24:25]
	s_or_b64 s[0:1], vcc, s[0:1]
	v_mov_b32_e32 v24, s20
	v_add_co_u32_e32 v4, vcc, s22, v4
	v_addc_co_u32_e32 v1, vcc, v1, v24, vcc
	v_add_co_u32_e32 v6, vcc, s22, v6
	v_addc_co_u32_e32 v5, vcc, v5, v24, vcc
	;; [unrolled: 2-line block ×8, first 2 shown]
	s_and_b64 vcc, exec, s[0:1]
	s_cbranch_vccnz .LBB66_25
.LBB66_9:                               ; =>This Inner Loop Header: Depth=1
	v_mov_b32_e32 v25, s17
	v_add_co_u32_e32 v24, vcc, s16, v0
	v_addc_co_u32_e32 v25, vcc, 0, v25, vcc
	v_cmp_gt_u64_e32 vcc, s[14:15], v[24:25]
	v_mov_b32_e32 v28, 0
	s_and_saveexec_b64 s[2:3], vcc
	s_cbranch_execz .LBB66_11
; %bb.10:                               ;   in Loop: Header=BB66_9 Depth=1
	v_mov_b32_e32 v25, s11
	v_add_co_u32_e64 v24, s[0:1], s10, v4
	v_addc_co_u32_e64 v25, s[0:1], v1, v25, s[0:1]
	global_load_dword v28, v[24:25], off
.LBB66_11:                              ;   in Loop: Header=BB66_9 Depth=1
	s_or_b64 exec, exec, s[2:3]
	v_mov_b32_e32 v25, s17
	v_add_co_u32_e64 v24, s[0:1], s16, v22
	v_addc_co_u32_e64 v25, s[0:1], v23, v25, s[0:1]
	v_cmp_gt_u64_e64 s[4:5], s[14:15], v[24:25]
	v_mov_b32_e32 v24, 0
	v_mov_b32_e32 v26, 0
	s_and_saveexec_b64 s[2:3], s[4:5]
	s_cbranch_execz .LBB66_13
; %bb.12:                               ;   in Loop: Header=BB66_9 Depth=1
	v_mov_b32_e32 v25, s11
	v_add_co_u32_e64 v26, s[0:1], s10, v14
	v_addc_co_u32_e64 v27, s[0:1], v15, v25, s[0:1]
	global_load_dword v26, v[26:27], off
.LBB66_13:                              ;   in Loop: Header=BB66_9 Depth=1
	s_or_b64 exec, exec, s[2:3]
	v_mov_b32_e32 v25, s17
	v_add_co_u32_e64 v30, s[0:1], s16, v20
	v_addc_co_u32_e64 v31, s[0:1], v21, v25, s[0:1]
	v_cmp_gt_u64_e64 s[2:3], s[14:15], v[30:31]
	s_and_saveexec_b64 s[6:7], s[2:3]
	s_cbranch_execz .LBB66_15
; %bb.14:                               ;   in Loop: Header=BB66_9 Depth=1
	v_mov_b32_e32 v25, s11
	v_add_co_u32_e64 v24, s[0:1], s10, v2
	v_addc_co_u32_e64 v25, s[0:1], v11, v25, s[0:1]
	global_load_dword v24, v[24:25], off
.LBB66_15:                              ;   in Loop: Header=BB66_9 Depth=1
	s_or_b64 exec, exec, s[6:7]
	v_mov_b32_e32 v25, s17
	v_add_co_u32_e64 v30, s[0:1], s16, v18
	v_addc_co_u32_e64 v31, s[0:1], v19, v25, s[0:1]
	v_cmp_gt_u64_e64 s[0:1], s[14:15], v[30:31]
	v_mov_b32_e32 v25, 0
	s_and_saveexec_b64 s[18:19], s[0:1]
	s_cbranch_execz .LBB66_17
; %bb.16:                               ;   in Loop: Header=BB66_9 Depth=1
	v_mov_b32_e32 v25, s11
	v_add_co_u32_e64 v30, s[6:7], s10, v8
	v_addc_co_u32_e64 v31, s[6:7], v7, v25, s[6:7]
	global_load_dword v25, v[30:31], off
.LBB66_17:                              ;   in Loop: Header=BB66_9 Depth=1
	s_or_b64 exec, exec, s[18:19]
	global_load_dword v27, v3, s[8:9]
	s_waitcnt vmcnt(0)
	v_mul_f32_e32 v27, s24, v27
	s_and_saveexec_b64 s[6:7], vcc
	s_cbranch_execnz .LBB66_21
; %bb.18:                               ;   in Loop: Header=BB66_9 Depth=1
	s_or_b64 exec, exec, s[6:7]
	s_and_saveexec_b64 s[6:7], s[4:5]
	s_cbranch_execnz .LBB66_22
.LBB66_19:                              ;   in Loop: Header=BB66_9 Depth=1
	s_or_b64 exec, exec, s[6:7]
	s_and_saveexec_b64 s[4:5], s[2:3]
	s_cbranch_execnz .LBB66_23
.LBB66_20:                              ;   in Loop: Header=BB66_9 Depth=1
	s_or_b64 exec, exec, s[4:5]
	s_and_saveexec_b64 s[2:3], s[0:1]
	s_cbranch_execz .LBB66_8
	s_branch .LBB66_24
.LBB66_21:                              ;   in Loop: Header=BB66_9 Depth=1
	v_div_scale_f32 v29, s[18:19], v27, v27, v28
	v_rcp_f32_e32 v30, v29
	v_div_scale_f32 v31, vcc, v28, v27, v28
	v_fma_f32 v32, -v29, v30, 1.0
	v_fmac_f32_e32 v30, v32, v30
	v_mul_f32_e32 v32, v31, v30
	v_fma_f32 v33, -v29, v32, v31
	v_fmac_f32_e32 v32, v33, v30
	v_fma_f32 v29, -v29, v32, v31
	v_div_fmas_f32 v29, v29, v30, v32
	v_div_fixup_f32 v30, v29, v27, v28
	v_mov_b32_e32 v29, s11
	v_add_co_u32_e32 v28, vcc, s10, v6
	v_addc_co_u32_e32 v29, vcc, v5, v29, vcc
	global_store_dword v[28:29], v30, off
	s_or_b64 exec, exec, s[6:7]
	s_and_saveexec_b64 s[6:7], s[4:5]
	s_cbranch_execz .LBB66_19
.LBB66_22:                              ;   in Loop: Header=BB66_9 Depth=1
	v_div_scale_f32 v28, s[4:5], v27, v27, v26
	v_rcp_f32_e32 v29, v28
	v_div_scale_f32 v30, vcc, v26, v27, v26
	v_fma_f32 v31, -v28, v29, 1.0
	v_fmac_f32_e32 v29, v31, v29
	v_mul_f32_e32 v31, v30, v29
	v_fma_f32 v32, -v28, v31, v30
	v_fmac_f32_e32 v31, v32, v29
	v_fma_f32 v28, -v28, v31, v30
	v_div_fmas_f32 v28, v28, v29, v31
	v_div_fixup_f32 v26, v28, v27, v26
	v_mov_b32_e32 v29, s11
	v_add_co_u32_e32 v28, vcc, s10, v16
	v_addc_co_u32_e32 v29, vcc, v17, v29, vcc
	global_store_dword v[28:29], v26, off
	s_or_b64 exec, exec, s[6:7]
	s_and_saveexec_b64 s[4:5], s[2:3]
	s_cbranch_execz .LBB66_20
.LBB66_23:                              ;   in Loop: Header=BB66_9 Depth=1
	v_div_scale_f32 v26, s[2:3], v27, v27, v24
	v_rcp_f32_e32 v28, v26
	v_div_scale_f32 v29, vcc, v24, v27, v24
	v_fma_f32 v30, -v26, v28, 1.0
	v_fmac_f32_e32 v28, v30, v28
	v_mul_f32_e32 v30, v29, v28
	v_fma_f32 v31, -v26, v30, v29
	v_fmac_f32_e32 v30, v31, v28
	v_fma_f32 v26, -v26, v30, v29
	v_div_fmas_f32 v26, v26, v28, v30
	v_div_fixup_f32 v24, v26, v27, v24
	v_mov_b32_e32 v26, s11
	v_add_co_u32_e32 v28, vcc, s10, v12
	v_addc_co_u32_e32 v29, vcc, v13, v26, vcc
	global_store_dword v[28:29], v24, off
	s_or_b64 exec, exec, s[4:5]
	s_and_saveexec_b64 s[2:3], s[0:1]
	s_cbranch_execz .LBB66_8
.LBB66_24:                              ;   in Loop: Header=BB66_9 Depth=1
	v_div_scale_f32 v24, s[0:1], v27, v27, v25
	v_rcp_f32_e32 v26, v24
	v_div_scale_f32 v28, vcc, v25, v27, v25
	v_fma_f32 v29, -v24, v26, 1.0
	v_fmac_f32_e32 v26, v29, v26
	v_mul_f32_e32 v29, v28, v26
	v_fma_f32 v30, -v24, v29, v28
	v_fmac_f32_e32 v29, v30, v26
	v_fma_f32 v24, -v24, v29, v28
	v_div_fmas_f32 v24, v24, v26, v29
	v_div_fixup_f32 v26, v24, v27, v25
	v_mov_b32_e32 v25, s11
	v_add_co_u32_e32 v24, vcc, s10, v10
	v_addc_co_u32_e32 v25, vcc, v9, v25, vcc
	global_store_dword v[24:25], v26, off
	s_branch .LBB66_8
.LBB66_25:
	s_endpgm
	.section	.rodata,"a",@progbits
	.p2align	6, 0x0
	.amdhsa_kernel _ZN2at6native12_GLOBAL__N_125multi_tensor_apply_kernelINS1_18TensorListMetadataILi2EEENS1_27BinaryOpScalarTensorFunctorIfLi2ELi1ELi1EEEJSt7dividesIfEPffEEEvT_T0_DpT1_
		.amdhsa_group_segment_fixed_size 0
		.amdhsa_private_segment_fixed_size 0
		.amdhsa_kernarg_size 3424
		.amdhsa_user_sgpr_count 6
		.amdhsa_user_sgpr_private_segment_buffer 1
		.amdhsa_user_sgpr_dispatch_ptr 0
		.amdhsa_user_sgpr_queue_ptr 0
		.amdhsa_user_sgpr_kernarg_segment_ptr 1
		.amdhsa_user_sgpr_dispatch_id 0
		.amdhsa_user_sgpr_flat_scratch_init 0
		.amdhsa_user_sgpr_kernarg_preload_length 0
		.amdhsa_user_sgpr_kernarg_preload_offset 0
		.amdhsa_user_sgpr_private_segment_size 0
		.amdhsa_uses_dynamic_stack 0
		.amdhsa_system_sgpr_private_segment_wavefront_offset 0
		.amdhsa_system_sgpr_workgroup_id_x 1
		.amdhsa_system_sgpr_workgroup_id_y 0
		.amdhsa_system_sgpr_workgroup_id_z 0
		.amdhsa_system_sgpr_workgroup_info 0
		.amdhsa_system_vgpr_workitem_id 0
		.amdhsa_next_free_vgpr 37
		.amdhsa_next_free_sgpr 27
		.amdhsa_accum_offset 40
		.amdhsa_reserve_vcc 1
		.amdhsa_reserve_flat_scratch 0
		.amdhsa_float_round_mode_32 0
		.amdhsa_float_round_mode_16_64 0
		.amdhsa_float_denorm_mode_32 3
		.amdhsa_float_denorm_mode_16_64 3
		.amdhsa_dx10_clamp 1
		.amdhsa_ieee_mode 1
		.amdhsa_fp16_overflow 0
		.amdhsa_tg_split 0
		.amdhsa_exception_fp_ieee_invalid_op 0
		.amdhsa_exception_fp_denorm_src 0
		.amdhsa_exception_fp_ieee_div_zero 0
		.amdhsa_exception_fp_ieee_overflow 0
		.amdhsa_exception_fp_ieee_underflow 0
		.amdhsa_exception_fp_ieee_inexact 0
		.amdhsa_exception_int_div_zero 0
	.end_amdhsa_kernel
	.section	.text._ZN2at6native12_GLOBAL__N_125multi_tensor_apply_kernelINS1_18TensorListMetadataILi2EEENS1_27BinaryOpScalarTensorFunctorIfLi2ELi1ELi1EEEJSt7dividesIfEPffEEEvT_T0_DpT1_,"axG",@progbits,_ZN2at6native12_GLOBAL__N_125multi_tensor_apply_kernelINS1_18TensorListMetadataILi2EEENS1_27BinaryOpScalarTensorFunctorIfLi2ELi1ELi1EEEJSt7dividesIfEPffEEEvT_T0_DpT1_,comdat
.Lfunc_end66:
	.size	_ZN2at6native12_GLOBAL__N_125multi_tensor_apply_kernelINS1_18TensorListMetadataILi2EEENS1_27BinaryOpScalarTensorFunctorIfLi2ELi1ELi1EEEJSt7dividesIfEPffEEEvT_T0_DpT1_, .Lfunc_end66-_ZN2at6native12_GLOBAL__N_125multi_tensor_apply_kernelINS1_18TensorListMetadataILi2EEENS1_27BinaryOpScalarTensorFunctorIfLi2ELi1ELi1EEEJSt7dividesIfEPffEEEvT_T0_DpT1_
                                        ; -- End function
	.section	.AMDGPU.csdata,"",@progbits
; Kernel info:
; codeLenInByte = 1832
; NumSgprs: 31
; NumVgprs: 37
; NumAgprs: 0
; TotalNumVgprs: 37
; ScratchSize: 0
; MemoryBound: 0
; FloatMode: 240
; IeeeMode: 1
; LDSByteSize: 0 bytes/workgroup (compile time only)
; SGPRBlocks: 3
; VGPRBlocks: 4
; NumSGPRsForWavesPerEU: 31
; NumVGPRsForWavesPerEU: 37
; AccumOffset: 40
; Occupancy: 8
; WaveLimiterHint : 0
; COMPUTE_PGM_RSRC2:SCRATCH_EN: 0
; COMPUTE_PGM_RSRC2:USER_SGPR: 6
; COMPUTE_PGM_RSRC2:TRAP_HANDLER: 0
; COMPUTE_PGM_RSRC2:TGID_X_EN: 1
; COMPUTE_PGM_RSRC2:TGID_Y_EN: 0
; COMPUTE_PGM_RSRC2:TGID_Z_EN: 0
; COMPUTE_PGM_RSRC2:TIDIG_COMP_CNT: 0
; COMPUTE_PGM_RSRC3_GFX90A:ACCUM_OFFSET: 9
; COMPUTE_PGM_RSRC3_GFX90A:TG_SPLIT: 0
	.section	.text._ZN2at6native12_GLOBAL__N_125multi_tensor_apply_kernelINS1_18TensorListMetadataILi2EEENS1_27BinaryOpScalarTensorFunctorIN3c107complexIdEELi2ELi1ELi1EEEJSt7dividesIS8_EPS8_S8_EEEvT_T0_DpT1_,"axG",@progbits,_ZN2at6native12_GLOBAL__N_125multi_tensor_apply_kernelINS1_18TensorListMetadataILi2EEENS1_27BinaryOpScalarTensorFunctorIN3c107complexIdEELi2ELi1ELi1EEEJSt7dividesIS8_EPS8_S8_EEEvT_T0_DpT1_,comdat
	.globl	_ZN2at6native12_GLOBAL__N_125multi_tensor_apply_kernelINS1_18TensorListMetadataILi2EEENS1_27BinaryOpScalarTensorFunctorIN3c107complexIdEELi2ELi1ELi1EEEJSt7dividesIS8_EPS8_S8_EEEvT_T0_DpT1_ ; -- Begin function _ZN2at6native12_GLOBAL__N_125multi_tensor_apply_kernelINS1_18TensorListMetadataILi2EEENS1_27BinaryOpScalarTensorFunctorIN3c107complexIdEELi2ELi1ELi1EEEJSt7dividesIS8_EPS8_S8_EEEvT_T0_DpT1_
	.p2align	8
	.type	_ZN2at6native12_GLOBAL__N_125multi_tensor_apply_kernelINS1_18TensorListMetadataILi2EEENS1_27BinaryOpScalarTensorFunctorIN3c107complexIdEELi2ELi1ELi1EEEJSt7dividesIS8_EPS8_S8_EEEvT_T0_DpT1_,@function
_ZN2at6native12_GLOBAL__N_125multi_tensor_apply_kernelINS1_18TensorListMetadataILi2EEENS1_27BinaryOpScalarTensorFunctorIN3c107complexIdEELi2ELi1ELi1EEEJSt7dividesIS8_EPS8_S8_EEEvT_T0_DpT1_: ; @_ZN2at6native12_GLOBAL__N_125multi_tensor_apply_kernelINS1_18TensorListMetadataILi2EEENS1_27BinaryOpScalarTensorFunctorIN3c107complexIdEELi2ELi1ELi1EEEJSt7dividesIS8_EPS8_S8_EEEvT_T0_DpT1_
; %bb.0:
	v_mov_b32_e32 v1, s6
	global_load_ubyte v1, v1, s[4:5] offset:1536
	s_add_u32 s0, s4, s6
	s_mul_hi_u32 s3, s6, 3
	s_mul_i32 s6, s6, 3
	s_addc_u32 s7, s5, 0
	s_add_u32 s2, s0, s6
	s_addc_u32 s3, s7, s3
	s_load_dword s2, s[2:3], 0x740
	s_mov_b32 s15, 0
	s_load_dwordx4 s[16:19], s[4:5], 0xc60
	s_mov_b32 s1, s15
	s_mov_b32 s9, s15
	s_waitcnt lgkmcnt(0)
	s_ashr_i32 s3, s2, 31
	s_lshl_b64 s[22:23], s[2:3], 20
	s_waitcnt vmcnt(0)
	v_readfirstlane_b32 s0, v1
	s_lshl_b32 s0, s0, 3
	s_load_dwordx2 s[12:13], s[4:5], s0 offset:0x0
	s_load_dwordx2 s[20:21], s[4:5], 0xc50
	s_load_dwordx2 s[6:7], s[4:5], s0 offset:0x400
	s_load_dwordx2 s[10:11], s[4:5], s0 offset:0x200
	s_waitcnt lgkmcnt(0)
	s_add_u32 s33, s12, s22
	s_addc_u32 s36, s13, s23
	s_add_u32 s37, s10, s22
	s_addc_u32 s38, s11, s23
	s_and_b32 s0, s33, 63
	s_and_b32 s8, s6, 3
	;; [unrolled: 1-line block ×3, first 2 shown]
	s_or_b64 s[0:1], s[0:1], s[8:9]
	s_lshl_b64 s[2:3], s[2:3], 16
	s_or_b64 s[0:1], s[14:15], s[0:1]
	s_sub_u32 s24, s6, s2
	s_subb_u32 s25, s7, s3
	s_cmp_eq_u64 s[0:1], 0
	s_mov_b64 s[0:1], -1
	s_cbranch_scc0 .LBB67_37
; %bb.1:
	v_mov_b32_e32 v23, 0
	v_lshlrev_b32_e32 v22, 2, v0
	v_cmp_gt_i64_e32 vcc, s[24:25], v[22:23]
	s_and_saveexec_b64 s[26:27], vcc
	s_cbranch_execz .LBB67_36
; %bb.2:
	s_load_dword s0, s[4:5], 0xc7c
	v_lshlrev_b32_e32 v24, 6, v0
	s_mov_b64 s[28:29], 0
	s_mov_b64 s[30:31], 0xffff
	s_waitcnt lgkmcnt(0)
	s_and_b32 s0, s0, 0xffff
	v_add_lshl_u32 v22, v0, s0, 2
	s_lshl_b32 s14, s0, 2
	s_lshl_b32 s39, s0, 6
	v_pk_mov_b32 v[26:27], v[22:23], v[22:23] op_sel:[0,1]
	s_branch .LBB67_4
.LBB67_3:                               ;   in Loop: Header=BB67_4 Depth=1
	v_mov_b32_e32 v1, s38
	s_waitcnt vmcnt(3)
	v_add_co_u32_e32 v2, vcc, s37, v24
	v_addc_co_u32_e32 v3, vcc, 0, v1, vcc
	v_cmp_le_i64_e32 vcc, s[24:25], v[26:27]
	v_cmp_lt_u64_e64 s[0:1], s[30:31], v[26:27]
	s_or_b64 s[0:1], vcc, s[0:1]
	s_add_u32 s33, s33, s39
	s_addc_u32 s36, s36, 0
	s_add_u32 s37, s37, s39
	s_addc_u32 s38, s38, 0
	v_mov_b32_e32 v1, s15
	s_and_b64 s[0:1], exec, s[0:1]
	v_add_co_u32_e32 v26, vcc, s14, v26
	s_or_b64 s[28:29], s[0:1], s[28:29]
	v_addc_co_u32_e32 v27, vcc, v27, v1, vcc
	global_store_dwordx4 v[2:3], v[10:13], off
	s_waitcnt vmcnt(1)
	global_store_dwordx4 v[2:3], v[18:21], off offset:16
	global_store_dwordx4 v[2:3], v[14:17], off offset:32
	;; [unrolled: 1-line block ×3, first 2 shown]
	s_andn2_b64 exec, exec, s[28:29]
	s_cbranch_execz .LBB67_36
.LBB67_4:                               ; =>This Inner Loop Header: Depth=1
	global_load_dwordx4 v[10:13], v23, s[20:21]
	v_mov_b32_e32 v1, s36
	v_add_co_u32_e32 v28, vcc, s33, v24
	v_addc_co_u32_e32 v29, vcc, 0, v1, vcc
	global_load_dwordx4 v[2:5], v[28:29], off offset:48
	global_load_dwordx4 v[6:9], v[28:29], off offset:32
	;; [unrolled: 1-line block ×3, first 2 shown]
	global_load_dwordx4 v[18:21], v[28:29], off
	s_waitcnt vmcnt(4)
	v_mul_f64 v[28:29], s[18:19], v[12:13]
	v_mul_f64 v[38:39], s[16:17], v[12:13]
	v_fma_f64 v[12:13], s[16:17], v[10:11], -v[28:29]
	v_fmac_f64_e32 v[38:39], s[18:19], v[10:11]
	v_div_scale_f64 v[10:11], s[2:3], v[12:13], v[12:13], v[38:39]
	v_rcp_f64_e32 v[34:35], v[10:11]
	v_div_scale_f64 v[36:37], s[2:3], v[38:39], v[38:39], v[12:13]
	v_xor_b32_e32 v1, 0x80000000, v13
	v_fma_f64 v[44:45], -v[10:11], v[34:35], 1.0
	v_cmp_gt_f64_e64 s[2:3], 0, v[12:13]
	v_fmac_f64_e32 v[34:35], v[34:35], v[44:45]
	v_xor_b32_e32 v22, 0x80000000, v39
	v_cndmask_b32_e64 v31, v13, v1, s[2:3]
	v_cndmask_b32_e64 v30, v12, v12, s[2:3]
	v_cmp_gt_f64_e64 s[2:3], 0, v[38:39]
	v_fma_f64 v[44:45], -v[10:11], v[34:35], 1.0
	v_cmp_neq_f64_e32 vcc, 0, v[12:13]
	v_cmp_neq_f64_e64 s[0:1], 0, v[38:39]
	v_div_scale_f64 v[32:33], s[6:7], v[38:39], v[12:13], v[38:39]
	v_cndmask_b32_e64 v29, v39, v22, s[2:3]
	v_cndmask_b32_e64 v28, v38, v38, s[2:3]
	v_fmac_f64_e32 v[34:35], v[34:35], v[44:45]
	s_or_b64 s[34:35], vcc, s[0:1]
	v_cmp_nge_f64_e32 vcc, v[30:31], v[28:29]
	v_mul_f64 v[44:45], v[32:33], v[34:35]
	s_and_b64 s[0:1], exec, vcc
	v_fma_f64 v[10:11], -v[10:11], v[44:45], v[32:33]
	s_mov_b64 vcc, s[6:7]
	v_div_fmas_f64 v[10:11], v[10:11], v[34:35], v[44:45]
	v_div_fixup_f64 v[34:35], v[10:11], v[12:13], v[38:39]
	v_rcp_f64_e32 v[42:43], v[36:37]
	v_fma_f64 v[10:11], v[38:39], v[34:35], v[12:13]
	v_div_scale_f64 v[32:33], s[6:7], v[10:11], v[10:11], 1.0
	v_rcp_f64_e32 v[44:45], v[32:33]
	v_fma_f64 v[46:47], -v[36:37], v[42:43], 1.0
	v_fmac_f64_e32 v[42:43], v[42:43], v[46:47]
	v_fma_f64 v[46:47], -v[36:37], v[42:43], 1.0
	v_fma_f64 v[48:49], -v[32:33], v[44:45], 1.0
	v_div_scale_f64 v[40:41], s[8:9], v[12:13], v[38:39], v[12:13]
	v_fmac_f64_e32 v[42:43], v[42:43], v[46:47]
	v_fmac_f64_e32 v[44:45], v[44:45], v[48:49]
	v_mul_f64 v[46:47], v[40:41], v[42:43]
	v_fma_f64 v[48:49], -v[32:33], v[44:45], 1.0
	v_fma_f64 v[36:37], -v[36:37], v[46:47], v[40:41]
	v_div_scale_f64 v[40:41], vcc, 1.0, v[10:11], 1.0
	v_fmac_f64_e32 v[44:45], v[44:45], v[48:49]
	v_mul_f64 v[48:49], v[40:41], v[44:45]
	v_fma_f64 v[32:33], -v[32:33], v[48:49], v[40:41]
	s_nop 0
	v_div_fmas_f64 v[40:41], v[32:33], v[44:45], v[48:49]
	s_mov_b64 vcc, s[8:9]
	v_div_fmas_f64 v[32:33], v[36:37], v[42:43], v[46:47]
	v_div_fixup_f64 v[32:33], v[32:33], v[38:39], v[12:13]
	v_fmac_f64_e32 v[38:39], v[12:13], v[32:33]
	v_div_scale_f64 v[12:13], s[6:7], v[38:39], v[38:39], 1.0
	v_rcp_f64_e32 v[42:43], v[12:13]
	v_div_fixup_f64 v[36:37], v[40:41], v[10:11], 1.0
	v_div_scale_f64 v[10:11], vcc, 1.0, v[38:39], 1.0
	v_fma_f64 v[40:41], -v[12:13], v[42:43], 1.0
	v_fmac_f64_e32 v[42:43], v[42:43], v[40:41]
	v_fma_f64 v[40:41], -v[12:13], v[42:43], 1.0
	v_fmac_f64_e32 v[42:43], v[42:43], v[40:41]
	v_mul_f64 v[40:41], v[10:11], v[42:43]
	v_fma_f64 v[10:11], -v[12:13], v[40:41], v[10:11]
	v_cmp_ge_f64_e64 s[2:3], v[30:31], v[28:29]
	v_div_fmas_f64 v[40:41], v[10:11], v[42:43], v[40:41]
	s_mov_b64 vcc, s[0:1]
	s_cbranch_vccnz .LBB67_7
; %bb.5:                                ;   in Loop: Header=BB67_4 Depth=1
	s_and_b64 vcc, exec, s[34:35]
	s_cbranch_vccz .LBB67_8
; %bb.6:                                ;   in Loop: Header=BB67_4 Depth=1
	s_waitcnt vmcnt(0)
	v_fma_f64 v[10:11], v[20:21], v[34:35], v[18:19]
	v_fma_f64 v[12:13], -v[18:19], v[34:35], v[20:21]
	v_mul_f64 v[10:11], v[10:11], v[36:37]
	v_mul_f64 v[12:13], v[12:13], v[36:37]
	s_cbranch_execz .LBB67_9
	s_branch .LBB67_10
.LBB67_7:                               ;   in Loop: Header=BB67_4 Depth=1
                                        ; implicit-def: $vgpr12_vgpr13
	v_div_fixup_f64 v[38:39], v[40:41], v[38:39], 1.0
	s_branch .LBB67_11
.LBB67_8:                               ;   in Loop: Header=BB67_4 Depth=1
                                        ; implicit-def: $vgpr12_vgpr13
.LBB67_9:                               ;   in Loop: Header=BB67_4 Depth=1
	s_waitcnt vmcnt(0)
	v_div_scale_f64 v[10:11], s[0:1], v[30:31], v[30:31], v[18:19]
	v_rcp_f64_e32 v[12:13], v[10:11]
	v_div_scale_f64 v[42:43], vcc, v[18:19], v[30:31], v[18:19]
	v_fma_f64 v[44:45], -v[10:11], v[12:13], 1.0
	v_fmac_f64_e32 v[12:13], v[12:13], v[44:45]
	v_fma_f64 v[44:45], -v[10:11], v[12:13], 1.0
	v_fmac_f64_e32 v[12:13], v[12:13], v[44:45]
	v_mul_f64 v[44:45], v[42:43], v[12:13]
	v_fma_f64 v[10:11], -v[10:11], v[44:45], v[42:43]
	v_div_scale_f64 v[42:43], s[0:1], v[28:29], v[28:29], v[20:21]
	v_rcp_f64_e32 v[46:47], v[42:43]
	v_div_fmas_f64 v[10:11], v[10:11], v[12:13], v[44:45]
	v_div_fixup_f64 v[10:11], v[10:11], v[30:31], v[18:19]
	v_fma_f64 v[12:13], -v[42:43], v[46:47], 1.0
	v_fmac_f64_e32 v[46:47], v[46:47], v[12:13]
	v_fma_f64 v[12:13], -v[42:43], v[46:47], 1.0
	v_fmac_f64_e32 v[46:47], v[46:47], v[12:13]
	v_div_scale_f64 v[12:13], vcc, v[20:21], v[28:29], v[20:21]
	v_mul_f64 v[44:45], v[12:13], v[46:47]
	v_fma_f64 v[12:13], -v[42:43], v[44:45], v[12:13]
	s_nop 1
	v_div_fmas_f64 v[12:13], v[12:13], v[46:47], v[44:45]
	v_div_fixup_f64 v[12:13], v[12:13], v[28:29], v[20:21]
.LBB67_10:                              ;   in Loop: Header=BB67_4 Depth=1
	v_div_fixup_f64 v[38:39], v[40:41], v[38:39], 1.0
	s_cbranch_execnz .LBB67_12
.LBB67_11:                              ;   in Loop: Header=BB67_4 Depth=1
	s_waitcnt vmcnt(0)
	v_fma_f64 v[10:11], v[18:19], v[32:33], v[20:21]
	v_fma_f64 v[12:13], v[20:21], v[32:33], -v[18:19]
	v_mul_f64 v[10:11], v[10:11], v[38:39]
	v_mul_f64 v[12:13], v[12:13], v[38:39]
.LBB67_12:                              ;   in Loop: Header=BB67_4 Depth=1
	v_cndmask_b32_e64 v1, 0, 1, s[2:3]
	v_cmp_ne_u32_e64 s[0:1], 1, v1
	s_andn2_b64 vcc, exec, s[2:3]
	s_cbranch_vccnz .LBB67_15
; %bb.13:                               ;   in Loop: Header=BB67_4 Depth=1
	s_andn2_b64 vcc, exec, s[34:35]
	s_cbranch_vccnz .LBB67_16
; %bb.14:                               ;   in Loop: Header=BB67_4 Depth=1
	s_waitcnt vmcnt(0)
	v_fma_f64 v[18:19], v[16:17], v[34:35], v[14:15]
	v_fma_f64 v[20:21], -v[14:15], v[34:35], v[16:17]
	v_mul_f64 v[18:19], v[18:19], v[36:37]
	v_mul_f64 v[20:21], v[20:21], v[36:37]
	s_cbranch_execz .LBB67_17
	s_branch .LBB67_18
.LBB67_15:                              ;   in Loop: Header=BB67_4 Depth=1
                                        ; implicit-def: $vgpr20_vgpr21
	s_branch .LBB67_19
.LBB67_16:                              ;   in Loop: Header=BB67_4 Depth=1
                                        ; implicit-def: $vgpr20_vgpr21
.LBB67_17:                              ;   in Loop: Header=BB67_4 Depth=1
	s_waitcnt vmcnt(0)
	v_div_scale_f64 v[18:19], s[2:3], v[30:31], v[30:31], v[14:15]
	v_rcp_f64_e32 v[20:21], v[18:19]
	v_div_scale_f64 v[40:41], vcc, v[14:15], v[30:31], v[14:15]
	v_fma_f64 v[42:43], -v[18:19], v[20:21], 1.0
	v_fmac_f64_e32 v[20:21], v[20:21], v[42:43]
	v_fma_f64 v[42:43], -v[18:19], v[20:21], 1.0
	v_fmac_f64_e32 v[20:21], v[20:21], v[42:43]
	v_mul_f64 v[42:43], v[40:41], v[20:21]
	v_fma_f64 v[18:19], -v[18:19], v[42:43], v[40:41]
	v_div_scale_f64 v[40:41], s[2:3], v[28:29], v[28:29], v[16:17]
	v_rcp_f64_e32 v[44:45], v[40:41]
	v_div_fmas_f64 v[18:19], v[18:19], v[20:21], v[42:43]
	v_div_fixup_f64 v[18:19], v[18:19], v[30:31], v[14:15]
	v_fma_f64 v[20:21], -v[40:41], v[44:45], 1.0
	v_fmac_f64_e32 v[44:45], v[44:45], v[20:21]
	v_fma_f64 v[20:21], -v[40:41], v[44:45], 1.0
	v_fmac_f64_e32 v[44:45], v[44:45], v[20:21]
	v_div_scale_f64 v[20:21], vcc, v[16:17], v[28:29], v[16:17]
	v_mul_f64 v[42:43], v[20:21], v[44:45]
	v_fma_f64 v[20:21], -v[40:41], v[42:43], v[20:21]
	s_nop 1
	v_div_fmas_f64 v[20:21], v[20:21], v[44:45], v[42:43]
	v_div_fixup_f64 v[20:21], v[20:21], v[28:29], v[16:17]
.LBB67_18:                              ;   in Loop: Header=BB67_4 Depth=1
	s_cbranch_execnz .LBB67_20
.LBB67_19:                              ;   in Loop: Header=BB67_4 Depth=1
	s_waitcnt vmcnt(0)
	v_fma_f64 v[18:19], v[14:15], v[32:33], v[16:17]
	v_fma_f64 v[14:15], v[16:17], v[32:33], -v[14:15]
	v_mul_f64 v[18:19], v[18:19], v[38:39]
	v_mul_f64 v[20:21], v[14:15], v[38:39]
.LBB67_20:                              ;   in Loop: Header=BB67_4 Depth=1
	s_and_b64 vcc, exec, s[0:1]
	s_cbranch_vccnz .LBB67_23
; %bb.21:                               ;   in Loop: Header=BB67_4 Depth=1
	s_andn2_b64 vcc, exec, s[34:35]
	s_cbranch_vccnz .LBB67_24
; %bb.22:                               ;   in Loop: Header=BB67_4 Depth=1
	s_waitcnt vmcnt(1)
	v_fma_f64 v[14:15], v[8:9], v[34:35], v[6:7]
	v_fma_f64 v[16:17], -v[6:7], v[34:35], v[8:9]
	v_mul_f64 v[14:15], v[14:15], v[36:37]
	v_mul_f64 v[16:17], v[16:17], v[36:37]
	s_cbranch_execz .LBB67_25
	s_branch .LBB67_26
.LBB67_23:                              ;   in Loop: Header=BB67_4 Depth=1
                                        ; implicit-def: $vgpr16_vgpr17
	s_branch .LBB67_27
.LBB67_24:                              ;   in Loop: Header=BB67_4 Depth=1
                                        ; implicit-def: $vgpr16_vgpr17
.LBB67_25:                              ;   in Loop: Header=BB67_4 Depth=1
	s_waitcnt vmcnt(1)
	v_div_scale_f64 v[14:15], s[2:3], v[30:31], v[30:31], v[6:7]
	v_rcp_f64_e32 v[16:17], v[14:15]
	v_div_scale_f64 v[40:41], vcc, v[6:7], v[30:31], v[6:7]
	v_fma_f64 v[42:43], -v[14:15], v[16:17], 1.0
	v_fmac_f64_e32 v[16:17], v[16:17], v[42:43]
	v_fma_f64 v[42:43], -v[14:15], v[16:17], 1.0
	v_fmac_f64_e32 v[16:17], v[16:17], v[42:43]
	v_mul_f64 v[42:43], v[40:41], v[16:17]
	v_fma_f64 v[14:15], -v[14:15], v[42:43], v[40:41]
	v_div_scale_f64 v[40:41], s[2:3], v[28:29], v[28:29], v[8:9]
	v_rcp_f64_e32 v[44:45], v[40:41]
	v_div_fmas_f64 v[14:15], v[14:15], v[16:17], v[42:43]
	v_div_fixup_f64 v[14:15], v[14:15], v[30:31], v[6:7]
	v_fma_f64 v[16:17], -v[40:41], v[44:45], 1.0
	v_fmac_f64_e32 v[44:45], v[44:45], v[16:17]
	v_fma_f64 v[16:17], -v[40:41], v[44:45], 1.0
	v_fmac_f64_e32 v[44:45], v[44:45], v[16:17]
	v_div_scale_f64 v[16:17], vcc, v[8:9], v[28:29], v[8:9]
	v_mul_f64 v[42:43], v[16:17], v[44:45]
	v_fma_f64 v[16:17], -v[40:41], v[42:43], v[16:17]
	s_nop 1
	v_div_fmas_f64 v[16:17], v[16:17], v[44:45], v[42:43]
	v_div_fixup_f64 v[16:17], v[16:17], v[28:29], v[8:9]
.LBB67_26:                              ;   in Loop: Header=BB67_4 Depth=1
	s_cbranch_execnz .LBB67_28
.LBB67_27:                              ;   in Loop: Header=BB67_4 Depth=1
	s_waitcnt vmcnt(1)
	v_fma_f64 v[14:15], v[6:7], v[32:33], v[8:9]
	v_fma_f64 v[6:7], v[8:9], v[32:33], -v[6:7]
	v_mul_f64 v[14:15], v[14:15], v[38:39]
	v_mul_f64 v[16:17], v[6:7], v[38:39]
.LBB67_28:                              ;   in Loop: Header=BB67_4 Depth=1
	s_and_b64 vcc, exec, s[0:1]
	s_cbranch_vccnz .LBB67_31
; %bb.29:                               ;   in Loop: Header=BB67_4 Depth=1
	s_andn2_b64 vcc, exec, s[34:35]
	s_cbranch_vccnz .LBB67_32
; %bb.30:                               ;   in Loop: Header=BB67_4 Depth=1
	s_waitcnt vmcnt(2)
	v_fma_f64 v[6:7], v[4:5], v[34:35], v[2:3]
	v_fma_f64 v[8:9], -v[2:3], v[34:35], v[4:5]
	v_mul_f64 v[6:7], v[6:7], v[36:37]
	v_mul_f64 v[8:9], v[8:9], v[36:37]
	s_cbranch_execz .LBB67_33
	s_branch .LBB67_34
.LBB67_31:                              ;   in Loop: Header=BB67_4 Depth=1
                                        ; implicit-def: $vgpr8_vgpr9
	s_branch .LBB67_35
.LBB67_32:                              ;   in Loop: Header=BB67_4 Depth=1
                                        ; implicit-def: $vgpr8_vgpr9
.LBB67_33:                              ;   in Loop: Header=BB67_4 Depth=1
	s_waitcnt vmcnt(2)
	v_div_scale_f64 v[6:7], s[0:1], v[30:31], v[30:31], v[2:3]
	v_rcp_f64_e32 v[8:9], v[6:7]
	v_div_scale_f64 v[34:35], vcc, v[2:3], v[30:31], v[2:3]
	v_fma_f64 v[36:37], -v[6:7], v[8:9], 1.0
	v_fmac_f64_e32 v[8:9], v[8:9], v[36:37]
	v_fma_f64 v[36:37], -v[6:7], v[8:9], 1.0
	v_fmac_f64_e32 v[8:9], v[8:9], v[36:37]
	v_mul_f64 v[36:37], v[34:35], v[8:9]
	v_fma_f64 v[6:7], -v[6:7], v[36:37], v[34:35]
	v_div_scale_f64 v[34:35], s[0:1], v[28:29], v[28:29], v[4:5]
	v_rcp_f64_e32 v[40:41], v[34:35]
	v_div_fmas_f64 v[6:7], v[6:7], v[8:9], v[36:37]
	v_div_fixup_f64 v[6:7], v[6:7], v[30:31], v[2:3]
	v_fma_f64 v[8:9], -v[34:35], v[40:41], 1.0
	v_fmac_f64_e32 v[40:41], v[40:41], v[8:9]
	v_fma_f64 v[8:9], -v[34:35], v[40:41], 1.0
	v_fmac_f64_e32 v[40:41], v[40:41], v[8:9]
	v_div_scale_f64 v[8:9], vcc, v[4:5], v[28:29], v[4:5]
	v_mul_f64 v[30:31], v[8:9], v[40:41]
	v_fma_f64 v[8:9], -v[34:35], v[30:31], v[8:9]
	s_nop 1
	v_div_fmas_f64 v[8:9], v[8:9], v[40:41], v[30:31]
	v_div_fixup_f64 v[8:9], v[8:9], v[28:29], v[4:5]
.LBB67_34:                              ;   in Loop: Header=BB67_4 Depth=1
	s_cbranch_execnz .LBB67_3
.LBB67_35:                              ;   in Loop: Header=BB67_4 Depth=1
	s_waitcnt vmcnt(2)
	v_fma_f64 v[6:7], v[2:3], v[32:33], v[4:5]
	v_fma_f64 v[2:3], v[4:5], v[32:33], -v[2:3]
	v_mul_f64 v[6:7], v[6:7], v[38:39]
	v_mul_f64 v[8:9], v[2:3], v[38:39]
	s_branch .LBB67_3
.LBB67_36:
	s_or_b64 exec, exec, s[26:27]
	s_mov_b64 s[0:1], 0
.LBB67_37:
	s_andn2_b64 vcc, exec, s[0:1]
	s_cbranch_vccnz .LBB67_89
; %bb.38:
	v_cmp_lt_i64_e64 s[0:1], s[24:25], 1
	s_and_b64 vcc, exec, s[0:1]
	s_cbranch_vccnz .LBB67_89
; %bb.39:
	s_load_dword s0, s[4:5], 0xc7c
	v_mov_b32_e32 v2, 0x10000
	v_mov_b32_e32 v3, 0
	v_cmp_lt_u64_e32 vcc, s[24:25], v[2:3]
	v_lshl_or_b32 v2, v0, 4, 8
	s_waitcnt lgkmcnt(0)
	s_and_b32 s36, s0, 0xffff
	s_and_b64 s[0:1], vcc, exec
	v_mov_b32_e32 v6, s13
	v_add_co_u32_e32 v22, vcc, s12, v2
	v_addc_co_u32_e32 v23, vcc, 0, v6, vcc
	v_mov_b32_e32 v7, s11
	v_add_co_u32_e32 v24, vcc, s10, v2
	v_mov_b32_e32 v1, 0
	v_addc_co_u32_e32 v25, vcc, 0, v7, vcc
	v_add_lshl_u32 v8, v0, s36, 4
	v_mov_b32_e32 v3, v1
	v_add_co_u32_e32 v26, vcc, s10, v8
	v_addc_co_u32_e32 v27, vcc, 0, v7, vcc
	v_mad_u64_u32 v[4:5], s[0:1], s36, 48, v[2:3]
	v_add_co_u32_e32 v28, vcc, s12, v4
	v_addc_co_u32_e32 v29, vcc, v6, v5, vcc
	v_add_co_u32_e32 v30, vcc, s12, v8
	v_addc_co_u32_e32 v31, vcc, 0, v6, vcc
	v_add_co_u32_e32 v32, vcc, s10, v4
	s_cselect_b32 s27, s25, 0
	s_cselect_b32 s26, s24, 0x10000
	v_addc_co_u32_e32 v33, vcc, v7, v5, vcc
	s_lshl_b32 s0, s36, 5
	v_add_co_u32_e32 v2, vcc, s0, v2
	v_addc_co_u32_e64 v3, s[0:1], 0, 0, vcc
	v_add_co_u32_e32 v34, vcc, s12, v2
	s_mov_b32 s33, 0
	v_addc_co_u32_e32 v35, vcc, v6, v3, vcc
	s_lshl_b32 s28, s36, 2
	s_mov_b32 s29, s33
	v_add_co_u32_e32 v36, vcc, s10, v2
	s_lshl_b32 s37, s36, 1
	s_mov_b32 s38, s33
	s_mul_i32 s39, s36, 3
	s_mov_b32 s40, s33
	s_lshl_b32 s41, s36, 6
	s_mov_b32 s42, s33
	v_addc_co_u32_e32 v37, vcc, v7, v3, vcc
	v_pk_mov_b32 v[38:39], v[0:1], v[0:1] op_sel:[0,1]
	s_mov_b64 s[30:31], s[28:29]
	s_branch .LBB67_41
.LBB67_40:                              ;   in Loop: Header=BB67_41 Depth=1
	s_or_b64 exec, exec, s[0:1]
	v_pk_mov_b32 v[2:3], s[24:25], s[24:25] op_sel:[0,1]
	v_cmp_ge_i64_e32 vcc, s[30:31], v[2:3]
	v_mov_b32_e32 v2, 0xffff
	v_mov_b32_e32 v3, 0
	v_cmp_gt_u64_e64 s[0:1], s[30:31], v[2:3]
	s_or_b64 s[0:1], vcc, s[0:1]
	v_mov_b32_e32 v0, s29
	v_add_co_u32_e32 v38, vcc, s28, v38
	v_addc_co_u32_e32 v39, vcc, v39, v0, vcc
	v_mov_b32_e32 v0, s42
	v_add_co_u32_e32 v22, vcc, s41, v22
	v_addc_co_u32_e32 v23, vcc, v23, v0, vcc
	v_add_co_u32_e32 v24, vcc, s41, v24
	v_addc_co_u32_e32 v25, vcc, v25, v0, vcc
	v_add_co_u32_e32 v26, vcc, s41, v26
	v_addc_co_u32_e32 v27, vcc, v27, v0, vcc
	v_add_co_u32_e32 v28, vcc, s41, v28
	v_addc_co_u32_e32 v29, vcc, v29, v0, vcc
	v_add_co_u32_e32 v30, vcc, s41, v30
	v_addc_co_u32_e32 v31, vcc, v31, v0, vcc
	v_add_co_u32_e32 v32, vcc, s41, v32
	v_addc_co_u32_e32 v33, vcc, v33, v0, vcc
	v_add_co_u32_e32 v34, vcc, s41, v34
	v_addc_co_u32_e32 v35, vcc, v35, v0, vcc
	v_add_co_u32_e32 v36, vcc, s41, v36
	s_add_u32 s30, s30, s28
	v_addc_co_u32_e32 v37, vcc, v37, v0, vcc
	s_addc_u32 s31, s31, 0
	s_and_b64 vcc, exec, s[0:1]
	s_cbranch_vccnz .LBB67_89
.LBB67_41:                              ; =>This Inner Loop Header: Depth=1
	v_pk_mov_b32 v[12:13], 0, 0
	v_cmp_gt_u64_e64 s[0:1], s[26:27], v[38:39]
	v_pk_mov_b32 v[20:21], v[12:13], v[12:13] op_sel:[0,1]
	v_pk_mov_b32 v[18:19], v[12:13], v[12:13] op_sel:[0,1]
	s_and_saveexec_b64 s[2:3], s[0:1]
	s_cbranch_execz .LBB67_43
; %bb.42:                               ;   in Loop: Header=BB67_41 Depth=1
	v_mov_b32_e32 v0, s23
	v_add_co_u32_e32 v2, vcc, s22, v22
	v_addc_co_u32_e32 v3, vcc, v23, v0, vcc
	global_load_dwordx4 v[18:21], v[2:3], off offset:-8
.LBB67_43:                              ;   in Loop: Header=BB67_41 Depth=1
	s_or_b64 exec, exec, s[2:3]
	v_mov_b32_e32 v0, s33
	v_add_co_u32_e32 v2, vcc, s36, v38
	v_addc_co_u32_e32 v3, vcc, v0, v39, vcc
	v_cmp_gt_u64_e64 s[2:3], s[26:27], v[2:3]
	v_pk_mov_b32 v[10:11], v[12:13], v[12:13] op_sel:[0,1]
	s_and_saveexec_b64 s[4:5], s[2:3]
	s_cbranch_execz .LBB67_45
; %bb.44:                               ;   in Loop: Header=BB67_41 Depth=1
	v_mov_b32_e32 v0, s23
	v_add_co_u32_e32 v2, vcc, s22, v30
	v_addc_co_u32_e32 v3, vcc, v31, v0, vcc
	global_load_dwordx4 v[10:13], v[2:3], off
.LBB67_45:                              ;   in Loop: Header=BB67_41 Depth=1
	s_or_b64 exec, exec, s[4:5]
	v_mov_b32_e32 v0, s38
	v_add_co_u32_e32 v2, vcc, s37, v38
	v_addc_co_u32_e32 v3, vcc, v0, v39, vcc
	v_pk_mov_b32 v[4:5], 0, 0
	v_cmp_gt_u64_e64 s[4:5], s[26:27], v[2:3]
	v_pk_mov_b32 v[8:9], v[4:5], v[4:5] op_sel:[0,1]
	v_pk_mov_b32 v[6:7], v[4:5], v[4:5] op_sel:[0,1]
	s_and_saveexec_b64 s[6:7], s[4:5]
	s_cbranch_execz .LBB67_47
; %bb.46:                               ;   in Loop: Header=BB67_41 Depth=1
	v_mov_b32_e32 v0, s23
	v_add_co_u32_e32 v2, vcc, s22, v34
	v_addc_co_u32_e32 v3, vcc, v35, v0, vcc
	global_load_dwordx4 v[6:9], v[2:3], off offset:-8
.LBB67_47:                              ;   in Loop: Header=BB67_41 Depth=1
	s_or_b64 exec, exec, s[6:7]
	v_mov_b32_e32 v0, s40
	v_add_co_u32_e32 v2, vcc, s39, v38
	v_addc_co_u32_e32 v3, vcc, v0, v39, vcc
	v_cmp_gt_u64_e64 s[6:7], s[26:27], v[2:3]
	v_pk_mov_b32 v[2:3], v[4:5], v[4:5] op_sel:[0,1]
	s_and_saveexec_b64 s[8:9], s[6:7]
	s_cbranch_execz .LBB67_49
; %bb.48:                               ;   in Loop: Header=BB67_41 Depth=1
	v_mov_b32_e32 v0, s23
	v_add_co_u32_e32 v2, vcc, s22, v28
	v_addc_co_u32_e32 v3, vcc, v29, v0, vcc
	global_load_dwordx4 v[2:5], v[2:3], off offset:-8
.LBB67_49:                              ;   in Loop: Header=BB67_41 Depth=1
	s_or_b64 exec, exec, s[8:9]
	global_load_dwordx4 v[14:17], v1, s[20:21]
	s_waitcnt vmcnt(0)
	v_mul_f64 v[40:41], s[18:19], v[16:17]
	v_mul_f64 v[50:51], s[16:17], v[16:17]
	v_fma_f64 v[16:17], s[16:17], v[14:15], -v[40:41]
	v_fmac_f64_e32 v[50:51], s[18:19], v[14:15]
	v_div_scale_f64 v[14:15], s[10:11], v[16:17], v[16:17], v[50:51]
	v_rcp_f64_e32 v[46:47], v[14:15]
	v_div_scale_f64 v[44:45], s[12:13], v[50:51], v[16:17], v[50:51]
	v_cmp_neq_f64_e32 vcc, 0, v[16:17]
	v_fma_f64 v[56:57], -v[14:15], v[46:47], 1.0
	v_fmac_f64_e32 v[46:47], v[46:47], v[56:57]
	v_fma_f64 v[56:57], -v[14:15], v[46:47], 1.0
	v_fmac_f64_e32 v[46:47], v[46:47], v[56:57]
	v_cmp_neq_f64_e64 s[8:9], 0, v[50:51]
	v_mul_f64 v[56:57], v[44:45], v[46:47]
	s_or_b64 s[34:35], vcc, s[8:9]
	v_fma_f64 v[14:15], -v[14:15], v[56:57], v[44:45]
	s_mov_b64 vcc, s[12:13]
	v_div_fmas_f64 v[14:15], v[14:15], v[46:47], v[56:57]
	v_div_scale_f64 v[48:49], s[10:11], v[50:51], v[50:51], v[16:17]
	v_div_fixup_f64 v[46:47], v[14:15], v[16:17], v[50:51]
	v_rcp_f64_e32 v[54:55], v[48:49]
	v_fma_f64 v[14:15], v[50:51], v[46:47], v[16:17]
	v_div_scale_f64 v[44:45], s[12:13], v[14:15], v[14:15], 1.0
	v_rcp_f64_e32 v[56:57], v[44:45]
	v_fma_f64 v[58:59], -v[48:49], v[54:55], 1.0
	v_fmac_f64_e32 v[54:55], v[54:55], v[58:59]
	v_fma_f64 v[58:59], -v[48:49], v[54:55], 1.0
	v_fma_f64 v[60:61], -v[44:45], v[56:57], 1.0
	v_div_scale_f64 v[52:53], s[14:15], v[16:17], v[50:51], v[16:17]
	v_fmac_f64_e32 v[54:55], v[54:55], v[58:59]
	v_fmac_f64_e32 v[56:57], v[56:57], v[60:61]
	v_mul_f64 v[58:59], v[52:53], v[54:55]
	v_fma_f64 v[60:61], -v[44:45], v[56:57], 1.0
	v_fma_f64 v[48:49], -v[48:49], v[58:59], v[52:53]
	v_div_scale_f64 v[52:53], vcc, 1.0, v[14:15], 1.0
	v_fmac_f64_e32 v[56:57], v[56:57], v[60:61]
	v_mul_f64 v[60:61], v[52:53], v[56:57]
	v_fma_f64 v[44:45], -v[44:45], v[60:61], v[52:53]
	s_nop 0
	v_div_fmas_f64 v[52:53], v[44:45], v[56:57], v[60:61]
	s_mov_b64 vcc, s[14:15]
	v_xor_b32_e32 v0, 0x80000000, v17
	v_cmp_gt_f64_e64 s[10:11], 0, v[16:17]
	v_div_fmas_f64 v[44:45], v[48:49], v[54:55], v[58:59]
	v_xor_b32_e32 v40, 0x80000000, v51
	v_cndmask_b32_e64 v43, v17, v0, s[10:11]
	v_cndmask_b32_e64 v42, v16, v16, s[10:11]
	v_cmp_gt_f64_e64 s[10:11], 0, v[50:51]
	v_div_fixup_f64 v[44:45], v[44:45], v[50:51], v[16:17]
	v_cndmask_b32_e64 v41, v51, v40, s[10:11]
	v_cndmask_b32_e64 v40, v50, v50, s[10:11]
	v_fmac_f64_e32 v[50:51], v[16:17], v[44:45]
	v_div_scale_f64 v[16:17], s[12:13], v[50:51], v[50:51], 1.0
	v_rcp_f64_e32 v[54:55], v[16:17]
	v_div_fixup_f64 v[48:49], v[52:53], v[14:15], 1.0
	v_div_scale_f64 v[14:15], vcc, 1.0, v[50:51], 1.0
	v_fma_f64 v[52:53], -v[16:17], v[54:55], 1.0
	v_fmac_f64_e32 v[54:55], v[54:55], v[52:53]
	v_fma_f64 v[52:53], -v[16:17], v[54:55], 1.0
	v_fmac_f64_e32 v[54:55], v[54:55], v[52:53]
	v_cmp_ge_f64_e64 s[10:11], v[42:43], v[40:41]
	v_mul_f64 v[52:53], v[14:15], v[54:55]
	s_and_b64 s[8:9], exec, s[10:11]
	v_fma_f64 v[14:15], -v[16:17], v[52:53], v[14:15]
	v_div_fmas_f64 v[52:53], v[14:15], v[54:55], v[52:53]
	s_mov_b64 vcc, s[8:9]
	s_cbranch_vccz .LBB67_52
; %bb.50:                               ;   in Loop: Header=BB67_41 Depth=1
	s_and_b64 vcc, exec, s[34:35]
	s_cbranch_vccz .LBB67_53
; %bb.51:                               ;   in Loop: Header=BB67_41 Depth=1
	v_fma_f64 v[14:15], v[20:21], v[46:47], v[18:19]
	v_fma_f64 v[16:17], -v[18:19], v[46:47], v[20:21]
	v_mul_f64 v[14:15], v[14:15], v[48:49]
	v_mul_f64 v[16:17], v[16:17], v[48:49]
	s_cbranch_execz .LBB67_54
	s_branch .LBB67_55
.LBB67_52:                              ;   in Loop: Header=BB67_41 Depth=1
                                        ; implicit-def: $vgpr16_vgpr17
	v_div_fixup_f64 v[50:51], v[52:53], v[50:51], 1.0
	s_branch .LBB67_56
.LBB67_53:                              ;   in Loop: Header=BB67_41 Depth=1
                                        ; implicit-def: $vgpr16_vgpr17
.LBB67_54:                              ;   in Loop: Header=BB67_41 Depth=1
	v_div_scale_f64 v[14:15], s[8:9], v[42:43], v[42:43], v[18:19]
	v_rcp_f64_e32 v[16:17], v[14:15]
	v_div_scale_f64 v[54:55], vcc, v[18:19], v[42:43], v[18:19]
	v_fma_f64 v[56:57], -v[14:15], v[16:17], 1.0
	v_fmac_f64_e32 v[16:17], v[16:17], v[56:57]
	v_fma_f64 v[56:57], -v[14:15], v[16:17], 1.0
	v_fmac_f64_e32 v[16:17], v[16:17], v[56:57]
	v_mul_f64 v[56:57], v[54:55], v[16:17]
	v_fma_f64 v[14:15], -v[14:15], v[56:57], v[54:55]
	v_div_scale_f64 v[54:55], s[8:9], v[40:41], v[40:41], v[20:21]
	v_rcp_f64_e32 v[58:59], v[54:55]
	v_div_fmas_f64 v[14:15], v[14:15], v[16:17], v[56:57]
	v_div_fixup_f64 v[14:15], v[14:15], v[42:43], v[18:19]
	v_fma_f64 v[16:17], -v[54:55], v[58:59], 1.0
	v_fmac_f64_e32 v[58:59], v[58:59], v[16:17]
	v_fma_f64 v[16:17], -v[54:55], v[58:59], 1.0
	v_fmac_f64_e32 v[58:59], v[58:59], v[16:17]
	v_div_scale_f64 v[16:17], vcc, v[20:21], v[40:41], v[20:21]
	v_mul_f64 v[56:57], v[16:17], v[58:59]
	v_fma_f64 v[16:17], -v[54:55], v[56:57], v[16:17]
	s_nop 1
	v_div_fmas_f64 v[16:17], v[16:17], v[58:59], v[56:57]
	v_div_fixup_f64 v[16:17], v[16:17], v[40:41], v[20:21]
.LBB67_55:                              ;   in Loop: Header=BB67_41 Depth=1
	v_div_fixup_f64 v[50:51], v[52:53], v[50:51], 1.0
	s_cbranch_execnz .LBB67_57
.LBB67_56:                              ;   in Loop: Header=BB67_41 Depth=1
	v_fma_f64 v[14:15], v[18:19], v[44:45], v[20:21]
	v_fma_f64 v[16:17], v[20:21], v[44:45], -v[18:19]
	v_mul_f64 v[14:15], v[14:15], v[50:51]
	v_mul_f64 v[16:17], v[16:17], v[50:51]
.LBB67_57:                              ;   in Loop: Header=BB67_41 Depth=1
	v_cndmask_b32_e64 v0, 0, 1, s[10:11]
	v_cmp_ne_u32_e64 s[8:9], 1, v0
	s_andn2_b64 vcc, exec, s[10:11]
	v_cndmask_b32_e64 v0, 0, 1, s[34:35]
	s_cbranch_vccnz .LBB67_60
; %bb.58:                               ;   in Loop: Header=BB67_41 Depth=1
	s_andn2_b64 vcc, exec, s[34:35]
	s_cbranch_vccnz .LBB67_61
; %bb.59:                               ;   in Loop: Header=BB67_41 Depth=1
	v_fma_f64 v[18:19], v[12:13], v[46:47], v[10:11]
	v_fma_f64 v[20:21], -v[10:11], v[46:47], v[12:13]
	v_mul_f64 v[18:19], v[18:19], v[48:49]
	v_mul_f64 v[20:21], v[20:21], v[48:49]
	s_cbranch_execz .LBB67_62
	s_branch .LBB67_63
.LBB67_60:                              ;   in Loop: Header=BB67_41 Depth=1
                                        ; implicit-def: $vgpr20_vgpr21
	s_branch .LBB67_64
.LBB67_61:                              ;   in Loop: Header=BB67_41 Depth=1
                                        ; implicit-def: $vgpr20_vgpr21
.LBB67_62:                              ;   in Loop: Header=BB67_41 Depth=1
	v_div_scale_f64 v[18:19], s[10:11], v[42:43], v[42:43], v[10:11]
	v_rcp_f64_e32 v[20:21], v[18:19]
	v_div_scale_f64 v[52:53], vcc, v[10:11], v[42:43], v[10:11]
	v_fma_f64 v[54:55], -v[18:19], v[20:21], 1.0
	v_fmac_f64_e32 v[20:21], v[20:21], v[54:55]
	v_fma_f64 v[54:55], -v[18:19], v[20:21], 1.0
	v_fmac_f64_e32 v[20:21], v[20:21], v[54:55]
	v_mul_f64 v[54:55], v[52:53], v[20:21]
	v_fma_f64 v[18:19], -v[18:19], v[54:55], v[52:53]
	v_div_scale_f64 v[52:53], s[10:11], v[40:41], v[40:41], v[12:13]
	v_rcp_f64_e32 v[56:57], v[52:53]
	v_div_fmas_f64 v[18:19], v[18:19], v[20:21], v[54:55]
	v_div_fixup_f64 v[18:19], v[18:19], v[42:43], v[10:11]
	v_fma_f64 v[20:21], -v[52:53], v[56:57], 1.0
	v_fmac_f64_e32 v[56:57], v[56:57], v[20:21]
	v_fma_f64 v[20:21], -v[52:53], v[56:57], 1.0
	v_fmac_f64_e32 v[56:57], v[56:57], v[20:21]
	v_div_scale_f64 v[20:21], vcc, v[12:13], v[40:41], v[12:13]
	v_mul_f64 v[54:55], v[20:21], v[56:57]
	v_fma_f64 v[20:21], -v[52:53], v[54:55], v[20:21]
	s_nop 1
	v_div_fmas_f64 v[20:21], v[20:21], v[56:57], v[54:55]
	v_div_fixup_f64 v[20:21], v[20:21], v[40:41], v[12:13]
.LBB67_63:                              ;   in Loop: Header=BB67_41 Depth=1
	s_cbranch_execnz .LBB67_65
.LBB67_64:                              ;   in Loop: Header=BB67_41 Depth=1
	v_fma_f64 v[18:19], v[10:11], v[44:45], v[12:13]
	v_fma_f64 v[10:11], v[12:13], v[44:45], -v[10:11]
	v_mul_f64 v[18:19], v[18:19], v[50:51]
	v_mul_f64 v[20:21], v[10:11], v[50:51]
.LBB67_65:                              ;   in Loop: Header=BB67_41 Depth=1
	s_and_b64 vcc, exec, s[8:9]
	s_cbranch_vccnz .LBB67_68
; %bb.66:                               ;   in Loop: Header=BB67_41 Depth=1
	v_cmp_ne_u32_e32 vcc, 1, v0
	s_cbranch_vccnz .LBB67_69
; %bb.67:                               ;   in Loop: Header=BB67_41 Depth=1
	v_fma_f64 v[10:11], v[8:9], v[46:47], v[6:7]
	v_fma_f64 v[12:13], -v[6:7], v[46:47], v[8:9]
	v_mul_f64 v[10:11], v[10:11], v[48:49]
	v_mul_f64 v[12:13], v[12:13], v[48:49]
	s_cbranch_execz .LBB67_70
	s_branch .LBB67_71
.LBB67_68:                              ;   in Loop: Header=BB67_41 Depth=1
                                        ; implicit-def: $vgpr12_vgpr13
	s_branch .LBB67_72
.LBB67_69:                              ;   in Loop: Header=BB67_41 Depth=1
                                        ; implicit-def: $vgpr12_vgpr13
.LBB67_70:                              ;   in Loop: Header=BB67_41 Depth=1
	v_div_scale_f64 v[10:11], s[10:11], v[42:43], v[42:43], v[6:7]
	v_rcp_f64_e32 v[12:13], v[10:11]
	v_div_scale_f64 v[52:53], vcc, v[6:7], v[42:43], v[6:7]
	v_fma_f64 v[54:55], -v[10:11], v[12:13], 1.0
	v_fmac_f64_e32 v[12:13], v[12:13], v[54:55]
	v_fma_f64 v[54:55], -v[10:11], v[12:13], 1.0
	v_fmac_f64_e32 v[12:13], v[12:13], v[54:55]
	v_mul_f64 v[54:55], v[52:53], v[12:13]
	v_fma_f64 v[10:11], -v[10:11], v[54:55], v[52:53]
	v_div_scale_f64 v[52:53], s[10:11], v[40:41], v[40:41], v[8:9]
	v_rcp_f64_e32 v[56:57], v[52:53]
	v_div_fmas_f64 v[10:11], v[10:11], v[12:13], v[54:55]
	v_div_fixup_f64 v[10:11], v[10:11], v[42:43], v[6:7]
	v_fma_f64 v[12:13], -v[52:53], v[56:57], 1.0
	v_fmac_f64_e32 v[56:57], v[56:57], v[12:13]
	v_fma_f64 v[12:13], -v[52:53], v[56:57], 1.0
	v_fmac_f64_e32 v[56:57], v[56:57], v[12:13]
	v_div_scale_f64 v[12:13], vcc, v[8:9], v[40:41], v[8:9]
	v_mul_f64 v[54:55], v[12:13], v[56:57]
	v_fma_f64 v[12:13], -v[52:53], v[54:55], v[12:13]
	s_nop 1
	v_div_fmas_f64 v[12:13], v[12:13], v[56:57], v[54:55]
	v_div_fixup_f64 v[12:13], v[12:13], v[40:41], v[8:9]
.LBB67_71:                              ;   in Loop: Header=BB67_41 Depth=1
	s_cbranch_execnz .LBB67_73
.LBB67_72:                              ;   in Loop: Header=BB67_41 Depth=1
	v_fma_f64 v[10:11], v[6:7], v[44:45], v[8:9]
	v_fma_f64 v[6:7], v[8:9], v[44:45], -v[6:7]
	v_mul_f64 v[10:11], v[10:11], v[50:51]
	v_mul_f64 v[12:13], v[6:7], v[50:51]
.LBB67_73:                              ;   in Loop: Header=BB67_41 Depth=1
	s_and_b64 vcc, exec, s[8:9]
	s_cbranch_vccnz .LBB67_76
; %bb.74:                               ;   in Loop: Header=BB67_41 Depth=1
	v_cmp_ne_u32_e32 vcc, 1, v0
	s_cbranch_vccnz .LBB67_77
; %bb.75:                               ;   in Loop: Header=BB67_41 Depth=1
	v_fma_f64 v[6:7], v[4:5], v[46:47], v[2:3]
	v_fma_f64 v[8:9], -v[2:3], v[46:47], v[4:5]
	v_mul_f64 v[6:7], v[6:7], v[48:49]
	v_mul_f64 v[8:9], v[8:9], v[48:49]
	s_cbranch_execz .LBB67_78
	s_branch .LBB67_79
.LBB67_76:                              ;   in Loop: Header=BB67_41 Depth=1
                                        ; implicit-def: $vgpr8_vgpr9
	s_branch .LBB67_80
.LBB67_77:                              ;   in Loop: Header=BB67_41 Depth=1
                                        ; implicit-def: $vgpr8_vgpr9
.LBB67_78:                              ;   in Loop: Header=BB67_41 Depth=1
	v_div_scale_f64 v[6:7], s[8:9], v[42:43], v[42:43], v[2:3]
	v_rcp_f64_e32 v[8:9], v[6:7]
	v_div_scale_f64 v[46:47], vcc, v[2:3], v[42:43], v[2:3]
	v_fma_f64 v[48:49], -v[6:7], v[8:9], 1.0
	v_fmac_f64_e32 v[8:9], v[8:9], v[48:49]
	v_fma_f64 v[48:49], -v[6:7], v[8:9], 1.0
	v_fmac_f64_e32 v[8:9], v[8:9], v[48:49]
	v_mul_f64 v[48:49], v[46:47], v[8:9]
	v_fma_f64 v[6:7], -v[6:7], v[48:49], v[46:47]
	v_div_scale_f64 v[46:47], s[8:9], v[40:41], v[40:41], v[4:5]
	v_rcp_f64_e32 v[52:53], v[46:47]
	v_div_fmas_f64 v[6:7], v[6:7], v[8:9], v[48:49]
	v_div_fixup_f64 v[6:7], v[6:7], v[42:43], v[2:3]
	v_fma_f64 v[8:9], -v[46:47], v[52:53], 1.0
	v_fmac_f64_e32 v[52:53], v[52:53], v[8:9]
	v_fma_f64 v[8:9], -v[46:47], v[52:53], 1.0
	v_fmac_f64_e32 v[52:53], v[52:53], v[8:9]
	v_div_scale_f64 v[8:9], vcc, v[4:5], v[40:41], v[4:5]
	v_mul_f64 v[42:43], v[8:9], v[52:53]
	v_fma_f64 v[8:9], -v[46:47], v[42:43], v[8:9]
	s_nop 1
	v_div_fmas_f64 v[8:9], v[8:9], v[52:53], v[42:43]
	v_div_fixup_f64 v[8:9], v[8:9], v[40:41], v[4:5]
.LBB67_79:                              ;   in Loop: Header=BB67_41 Depth=1
	s_cbranch_execnz .LBB67_81
.LBB67_80:                              ;   in Loop: Header=BB67_41 Depth=1
	v_fma_f64 v[6:7], v[2:3], v[44:45], v[4:5]
	v_fma_f64 v[2:3], v[4:5], v[44:45], -v[2:3]
	v_mul_f64 v[6:7], v[6:7], v[50:51]
	v_mul_f64 v[8:9], v[2:3], v[50:51]
.LBB67_81:                              ;   in Loop: Header=BB67_41 Depth=1
	s_and_saveexec_b64 s[8:9], s[0:1]
	s_xor_b64 s[0:1], exec, s[8:9]
	s_cbranch_execnz .LBB67_85
; %bb.82:                               ;   in Loop: Header=BB67_41 Depth=1
	s_or_b64 exec, exec, s[0:1]
	s_and_saveexec_b64 s[0:1], s[2:3]
	s_cbranch_execnz .LBB67_86
.LBB67_83:                              ;   in Loop: Header=BB67_41 Depth=1
	s_or_b64 exec, exec, s[0:1]
	s_and_saveexec_b64 s[0:1], s[4:5]
	s_cbranch_execnz .LBB67_87
.LBB67_84:                              ;   in Loop: Header=BB67_41 Depth=1
	s_or_b64 exec, exec, s[0:1]
	s_and_saveexec_b64 s[0:1], s[6:7]
	s_cbranch_execz .LBB67_40
	s_branch .LBB67_88
.LBB67_85:                              ;   in Loop: Header=BB67_41 Depth=1
	v_mov_b32_e32 v0, s23
	v_add_co_u32_e32 v2, vcc, s22, v24
	v_addc_co_u32_e32 v3, vcc, v25, v0, vcc
	global_store_dwordx4 v[2:3], v[14:17], off offset:-8
	s_or_b64 exec, exec, s[0:1]
	s_and_saveexec_b64 s[0:1], s[2:3]
	s_cbranch_execz .LBB67_83
.LBB67_86:                              ;   in Loop: Header=BB67_41 Depth=1
	v_mov_b32_e32 v0, s23
	v_add_co_u32_e32 v2, vcc, s22, v26
	v_addc_co_u32_e32 v3, vcc, v27, v0, vcc
	global_store_dwordx4 v[2:3], v[18:21], off
	s_or_b64 exec, exec, s[0:1]
	s_and_saveexec_b64 s[0:1], s[4:5]
	s_cbranch_execz .LBB67_84
.LBB67_87:                              ;   in Loop: Header=BB67_41 Depth=1
	v_mov_b32_e32 v0, s23
	v_add_co_u32_e32 v2, vcc, s22, v36
	v_addc_co_u32_e32 v3, vcc, v37, v0, vcc
	global_store_dwordx4 v[2:3], v[10:13], off offset:-8
	s_or_b64 exec, exec, s[0:1]
	s_and_saveexec_b64 s[0:1], s[6:7]
	s_cbranch_execz .LBB67_40
.LBB67_88:                              ;   in Loop: Header=BB67_41 Depth=1
	v_mov_b32_e32 v0, s23
	v_add_co_u32_e32 v2, vcc, s22, v32
	v_addc_co_u32_e32 v3, vcc, v33, v0, vcc
	global_store_dwordx4 v[2:3], v[6:9], off offset:-8
	s_branch .LBB67_40
.LBB67_89:
	s_endpgm
	.section	.rodata,"a",@progbits
	.p2align	6, 0x0
	.amdhsa_kernel _ZN2at6native12_GLOBAL__N_125multi_tensor_apply_kernelINS1_18TensorListMetadataILi2EEENS1_27BinaryOpScalarTensorFunctorIN3c107complexIdEELi2ELi1ELi1EEEJSt7dividesIS8_EPS8_S8_EEEvT_T0_DpT1_
		.amdhsa_group_segment_fixed_size 0
		.amdhsa_private_segment_fixed_size 0
		.amdhsa_kernarg_size 3440
		.amdhsa_user_sgpr_count 6
		.amdhsa_user_sgpr_private_segment_buffer 1
		.amdhsa_user_sgpr_dispatch_ptr 0
		.amdhsa_user_sgpr_queue_ptr 0
		.amdhsa_user_sgpr_kernarg_segment_ptr 1
		.amdhsa_user_sgpr_dispatch_id 0
		.amdhsa_user_sgpr_flat_scratch_init 0
		.amdhsa_user_sgpr_kernarg_preload_length 0
		.amdhsa_user_sgpr_kernarg_preload_offset 0
		.amdhsa_user_sgpr_private_segment_size 0
		.amdhsa_uses_dynamic_stack 0
		.amdhsa_system_sgpr_private_segment_wavefront_offset 0
		.amdhsa_system_sgpr_workgroup_id_x 1
		.amdhsa_system_sgpr_workgroup_id_y 0
		.amdhsa_system_sgpr_workgroup_id_z 0
		.amdhsa_system_sgpr_workgroup_info 0
		.amdhsa_system_vgpr_workitem_id 0
		.amdhsa_next_free_vgpr 62
		.amdhsa_next_free_sgpr 43
		.amdhsa_accum_offset 64
		.amdhsa_reserve_vcc 1
		.amdhsa_reserve_flat_scratch 0
		.amdhsa_float_round_mode_32 0
		.amdhsa_float_round_mode_16_64 0
		.amdhsa_float_denorm_mode_32 3
		.amdhsa_float_denorm_mode_16_64 3
		.amdhsa_dx10_clamp 1
		.amdhsa_ieee_mode 1
		.amdhsa_fp16_overflow 0
		.amdhsa_tg_split 0
		.amdhsa_exception_fp_ieee_invalid_op 0
		.amdhsa_exception_fp_denorm_src 0
		.amdhsa_exception_fp_ieee_div_zero 0
		.amdhsa_exception_fp_ieee_overflow 0
		.amdhsa_exception_fp_ieee_underflow 0
		.amdhsa_exception_fp_ieee_inexact 0
		.amdhsa_exception_int_div_zero 0
	.end_amdhsa_kernel
	.section	.text._ZN2at6native12_GLOBAL__N_125multi_tensor_apply_kernelINS1_18TensorListMetadataILi2EEENS1_27BinaryOpScalarTensorFunctorIN3c107complexIdEELi2ELi1ELi1EEEJSt7dividesIS8_EPS8_S8_EEEvT_T0_DpT1_,"axG",@progbits,_ZN2at6native12_GLOBAL__N_125multi_tensor_apply_kernelINS1_18TensorListMetadataILi2EEENS1_27BinaryOpScalarTensorFunctorIN3c107complexIdEELi2ELi1ELi1EEEJSt7dividesIS8_EPS8_S8_EEEvT_T0_DpT1_,comdat
.Lfunc_end67:
	.size	_ZN2at6native12_GLOBAL__N_125multi_tensor_apply_kernelINS1_18TensorListMetadataILi2EEENS1_27BinaryOpScalarTensorFunctorIN3c107complexIdEELi2ELi1ELi1EEEJSt7dividesIS8_EPS8_S8_EEEvT_T0_DpT1_, .Lfunc_end67-_ZN2at6native12_GLOBAL__N_125multi_tensor_apply_kernelINS1_18TensorListMetadataILi2EEENS1_27BinaryOpScalarTensorFunctorIN3c107complexIdEELi2ELi1ELi1EEEJSt7dividesIS8_EPS8_S8_EEEvT_T0_DpT1_
                                        ; -- End function
	.section	.AMDGPU.csdata,"",@progbits
; Kernel info:
; codeLenInByte = 4300
; NumSgprs: 47
; NumVgprs: 62
; NumAgprs: 0
; TotalNumVgprs: 62
; ScratchSize: 0
; MemoryBound: 1
; FloatMode: 240
; IeeeMode: 1
; LDSByteSize: 0 bytes/workgroup (compile time only)
; SGPRBlocks: 5
; VGPRBlocks: 7
; NumSGPRsForWavesPerEU: 47
; NumVGPRsForWavesPerEU: 62
; AccumOffset: 64
; Occupancy: 8
; WaveLimiterHint : 0
; COMPUTE_PGM_RSRC2:SCRATCH_EN: 0
; COMPUTE_PGM_RSRC2:USER_SGPR: 6
; COMPUTE_PGM_RSRC2:TRAP_HANDLER: 0
; COMPUTE_PGM_RSRC2:TGID_X_EN: 1
; COMPUTE_PGM_RSRC2:TGID_Y_EN: 0
; COMPUTE_PGM_RSRC2:TGID_Z_EN: 0
; COMPUTE_PGM_RSRC2:TIDIG_COMP_CNT: 0
; COMPUTE_PGM_RSRC3_GFX90A:ACCUM_OFFSET: 15
; COMPUTE_PGM_RSRC3_GFX90A:TG_SPLIT: 0
	.section	.text._ZN2at6native12_GLOBAL__N_125multi_tensor_apply_kernelINS1_18TensorListMetadataILi2EEENS1_27BinaryOpScalarTensorFunctorIN3c107complexIfEELi2ELi1ELi1EEEJSt7dividesIS8_EPS8_S8_EEEvT_T0_DpT1_,"axG",@progbits,_ZN2at6native12_GLOBAL__N_125multi_tensor_apply_kernelINS1_18TensorListMetadataILi2EEENS1_27BinaryOpScalarTensorFunctorIN3c107complexIfEELi2ELi1ELi1EEEJSt7dividesIS8_EPS8_S8_EEEvT_T0_DpT1_,comdat
	.globl	_ZN2at6native12_GLOBAL__N_125multi_tensor_apply_kernelINS1_18TensorListMetadataILi2EEENS1_27BinaryOpScalarTensorFunctorIN3c107complexIfEELi2ELi1ELi1EEEJSt7dividesIS8_EPS8_S8_EEEvT_T0_DpT1_ ; -- Begin function _ZN2at6native12_GLOBAL__N_125multi_tensor_apply_kernelINS1_18TensorListMetadataILi2EEENS1_27BinaryOpScalarTensorFunctorIN3c107complexIfEELi2ELi1ELi1EEEJSt7dividesIS8_EPS8_S8_EEEvT_T0_DpT1_
	.p2align	8
	.type	_ZN2at6native12_GLOBAL__N_125multi_tensor_apply_kernelINS1_18TensorListMetadataILi2EEENS1_27BinaryOpScalarTensorFunctorIN3c107complexIfEELi2ELi1ELi1EEEJSt7dividesIS8_EPS8_S8_EEEvT_T0_DpT1_,@function
_ZN2at6native12_GLOBAL__N_125multi_tensor_apply_kernelINS1_18TensorListMetadataILi2EEENS1_27BinaryOpScalarTensorFunctorIN3c107complexIfEELi2ELi1ELi1EEEJSt7dividesIS8_EPS8_S8_EEEvT_T0_DpT1_: ; @_ZN2at6native12_GLOBAL__N_125multi_tensor_apply_kernelINS1_18TensorListMetadataILi2EEENS1_27BinaryOpScalarTensorFunctorIN3c107complexIfEELi2ELi1ELi1EEEJSt7dividesIS8_EPS8_S8_EEEvT_T0_DpT1_
; %bb.0:
	v_mov_b32_e32 v1, s6
	global_load_ubyte v1, v1, s[4:5] offset:1536
	s_add_u32 s0, s4, s6
	s_mul_hi_u32 s3, s6, 3
	s_mul_i32 s6, s6, 3
	s_addc_u32 s7, s5, 0
	s_add_u32 s2, s0, s6
	s_addc_u32 s3, s7, s3
	s_load_dword s2, s[2:3], 0x740
	s_mov_b32 s25, 0
	s_load_dwordx4 s[16:19], s[4:5], 0xc50
	s_mov_b32 s1, s25
	s_mov_b32 s9, s25
	s_waitcnt lgkmcnt(0)
	s_ashr_i32 s3, s2, 31
	s_lshl_b64 s[20:21], s[2:3], 19
	s_waitcnt vmcnt(0)
	v_readfirstlane_b32 s0, v1
	s_lshl_b32 s0, s0, 3
	s_load_dwordx2 s[14:15], s[4:5], s0 offset:0x0
	s_load_dwordx2 s[6:7], s[4:5], s0 offset:0x400
	;; [unrolled: 1-line block ×3, first 2 shown]
	s_waitcnt lgkmcnt(0)
	s_add_u32 s33, s14, s20
	s_addc_u32 s40, s15, s21
	s_add_u32 s41, s12, s20
	s_addc_u32 s42, s13, s21
	s_and_b32 s0, s33, 31
	s_and_b32 s8, s6, 3
	;; [unrolled: 1-line block ×3, first 2 shown]
	s_or_b64 s[0:1], s[0:1], s[8:9]
	s_lshl_b64 s[2:3], s[2:3], 16
	s_or_b64 s[0:1], s[24:25], s[0:1]
	s_sub_u32 s22, s6, s2
	s_subb_u32 s23, s7, s3
	s_cmp_eq_u64 s[0:1], 0
	s_mov_b64 s[0:1], -1
	s_cbranch_scc0 .LBB68_37
; %bb.1:
	v_mov_b32_e32 v15, 0
	v_lshlrev_b32_e32 v14, 2, v0
	v_cmp_gt_i64_e32 vcc, s[22:23], v[14:15]
	s_and_saveexec_b64 s[26:27], vcc
	s_cbranch_execz .LBB68_36
; %bb.2:
	s_load_dword s0, s[4:5], 0xc6c
	s_mov_b32 s28, s18
	s_mov_b32 s29, s18
	s_mov_b32 s30, s19
	s_mov_b32 s31, s19
	s_waitcnt lgkmcnt(0)
	s_and_b32 s0, s0, 0xffff
	v_add_lshl_u32 v14, v0, s0, 2
	s_lshl_b32 s24, s0, 2
	v_lshlrev_b32_e32 v16, 5, v0
	s_lshl_b32 s43, s0, 5
	s_mov_b64 s[34:35], 0
	s_mov_b64 s[36:37], 0xffff
	v_pk_mov_b32 v[18:19], v[14:15], v[14:15] op_sel:[0,1]
	s_branch .LBB68_4
.LBB68_3:                               ;   in Loop: Header=BB68_4 Depth=1
	v_mov_b32_e32 v1, s42
	v_add_co_u32_e32 v2, vcc, s41, v16
	v_addc_co_u32_e32 v3, vcc, 0, v1, vcc
	v_cmp_le_i64_e32 vcc, s[22:23], v[18:19]
	v_cmp_lt_u64_e64 s[0:1], s[36:37], v[18:19]
	s_or_b64 s[0:1], vcc, s[0:1]
	s_add_u32 s33, s33, s43
	s_addc_u32 s40, s40, 0
	s_add_u32 s41, s41, s43
	s_addc_u32 s42, s42, 0
	v_mov_b32_e32 v1, s25
	s_and_b64 s[0:1], exec, s[0:1]
	v_add_co_u32_e32 v18, vcc, s24, v18
	s_or_b64 s[34:35], s[0:1], s[34:35]
	v_addc_co_u32_e32 v19, vcc, v19, v1, vcc
	global_store_dwordx4 v[2:3], v[6:9], off
	global_store_dwordx4 v[2:3], v[10:13], off offset:16
	s_andn2_b64 exec, exec, s[34:35]
	s_cbranch_execz .LBB68_36
.LBB68_4:                               ; =>This Inner Loop Header: Depth=1
	global_load_dwordx2 v[6:7], v15, s[16:17]
	v_mov_b32_e32 v1, s40
	v_add_co_u32_e32 v12, vcc, s33, v16
	v_addc_co_u32_e32 v13, vcc, 0, v1, vcc
	global_load_dwordx4 v[2:5], v[12:13], off offset:16
	global_load_dwordx4 v[8:11], v[12:13], off
	s_waitcnt vmcnt(2)
	v_pk_mul_f32 v[12:13], v[6:7], s[30:31]
	v_pk_fma_f32 v[20:21], v[6:7], s[28:29], v[12:13] op_sel:[0,0,1] op_sel_hi:[1,1,0] neg_lo:[0,0,1] neg_hi:[0,0,1]
	v_pk_fma_f32 v[12:13], v[6:7], s[28:29], v[12:13] op_sel:[0,0,1] op_sel_hi:[1,1,0]
	v_div_scale_f32 v6, s[2:3], v20, v20, v13
	v_rcp_f32_e32 v12, v6
	v_div_scale_f32 v7, s[6:7], v13, v20, v13
	v_cmp_gt_f32_e32 vcc, 0, v13
	v_fma_f32 v23, -v6, v12, 1.0
	v_fmac_f32_e32 v12, v23, v12
	v_mul_f32_e32 v23, v7, v12
	v_cndmask_b32_e64 v17, v13, -v13, vcc
	v_cmp_gt_f32_e32 vcc, 0, v20
	v_fma_f32 v25, -v6, v23, v7
	v_cndmask_b32_e64 v1, v20, -v20, vcc
	v_cmp_neq_f32_e32 vcc, 0, v20
	v_cmp_neq_f32_e64 s[0:1], 0, v13
	v_fmac_f32_e32 v23, v25, v12
	v_div_scale_f32 v14, s[2:3], v13, v13, v20
	s_or_b64 s[38:39], vcc, s[0:1]
	v_fma_f32 v6, -v6, v23, v7
	s_mov_b64 vcc, s[6:7]
	v_rcp_f32_e32 v22, v14
	v_div_fmas_f32 v6, v6, v12, v23
	v_div_fixup_f32 v12, v6, v20, v13
	v_fma_f32 v6, v13, v12, v20
	v_div_scale_f32 v7, s[6:7], v6, v6, 1.0
	v_fma_f32 v24, -v14, v22, 1.0
	v_rcp_f32_e32 v23, v7
	v_div_scale_f32 v21, s[8:9], v20, v13, v20
	v_fmac_f32_e32 v22, v24, v22
	v_mul_f32_e32 v24, v21, v22
	v_fma_f32 v26, -v14, v24, v21
	v_fmac_f32_e32 v24, v26, v22
	v_fma_f32 v25, -v7, v23, 1.0
	v_fma_f32 v14, -v14, v24, v21
	v_div_scale_f32 v21, vcc, 1.0, v6, 1.0
	v_fmac_f32_e32 v23, v25, v23
	v_mul_f32_e32 v25, v21, v23
	v_fma_f32 v26, -v7, v25, v21
	v_fmac_f32_e32 v25, v26, v23
	v_fma_f32 v7, -v7, v25, v21
	v_div_fmas_f32 v7, v7, v23, v25
	s_mov_b64 vcc, s[8:9]
	v_div_fmas_f32 v14, v14, v22, v24
	v_div_fixup_f32 v14, v14, v13, v20
	v_fmac_f32_e32 v13, v20, v14
	v_div_scale_f32 v21, s[6:7], v13, v13, 1.0
	v_rcp_f32_e32 v22, v21
	v_div_fixup_f32 v20, v7, v6, 1.0
	v_div_scale_f32 v6, vcc, 1.0, v13, 1.0
	v_fma_f32 v7, -v21, v22, 1.0
	v_fmac_f32_e32 v22, v7, v22
	v_mul_f32_e32 v7, v6, v22
	v_fma_f32 v23, -v21, v7, v6
	v_cmp_nge_f32_e64 s[10:11], v1, v17
	v_fmac_f32_e32 v7, v23, v22
	s_and_b64 s[0:1], exec, s[10:11]
	v_fma_f32 v6, -v21, v7, v6
	v_cmp_ge_f32_e64 s[2:3], v1, v17
	v_div_fmas_f32 v21, v6, v22, v7
	s_mov_b64 vcc, s[0:1]
	s_cbranch_vccnz .LBB68_7
; %bb.5:                                ;   in Loop: Header=BB68_4 Depth=1
	s_and_b64 vcc, exec, s[38:39]
	s_cbranch_vccz .LBB68_8
; %bb.6:                                ;   in Loop: Header=BB68_4 Depth=1
	s_waitcnt vmcnt(0)
	v_pk_mul_f32 v[6:7], v[8:9], v[12:13] op_sel_hi:[1,0]
	v_pk_add_f32 v[22:23], v[8:9], v[6:7] op_sel:[0,1] op_sel_hi:[1,0]
	v_pk_add_f32 v[6:7], v[8:9], v[6:7] op_sel:[0,1] op_sel_hi:[1,0] neg_lo:[0,1] neg_hi:[0,1]
	v_mov_b32_e32 v23, v7
	v_pk_mul_f32 v[6:7], v[22:23], v[20:21] op_sel_hi:[1,0]
	s_cbranch_execz .LBB68_9
	s_branch .LBB68_10
.LBB68_7:                               ;   in Loop: Header=BB68_4 Depth=1
                                        ; implicit-def: $vgpr6_vgpr7
	v_div_fixup_f32 v22, v21, v13, 1.0
	s_branch .LBB68_11
.LBB68_8:                               ;   in Loop: Header=BB68_4 Depth=1
                                        ; implicit-def: $vgpr6_vgpr7
.LBB68_9:                               ;   in Loop: Header=BB68_4 Depth=1
	s_waitcnt vmcnt(0)
	v_div_scale_f32 v6, s[0:1], v17, v17, v9
	v_rcp_f32_e32 v7, v6
	v_div_scale_f32 v22, vcc, v9, v17, v9
	v_fma_f32 v23, -v6, v7, 1.0
	v_fmac_f32_e32 v7, v23, v7
	v_mul_f32_e32 v23, v22, v7
	v_fma_f32 v24, -v6, v23, v22
	v_fmac_f32_e32 v23, v24, v7
	v_fma_f32 v6, -v6, v23, v22
	v_div_scale_f32 v22, s[0:1], v1, v1, v8
	v_rcp_f32_e32 v24, v22
	v_div_fmas_f32 v6, v6, v7, v23
	v_div_fixup_f32 v7, v6, v17, v9
	v_fma_f32 v6, -v22, v24, 1.0
	v_fmac_f32_e32 v24, v6, v24
	v_div_scale_f32 v6, vcc, v8, v1, v8
	v_mul_f32_e32 v23, v6, v24
	v_fma_f32 v25, -v22, v23, v6
	v_fmac_f32_e32 v23, v25, v24
	v_fma_f32 v6, -v22, v23, v6
	v_div_fmas_f32 v6, v6, v24, v23
	v_div_fixup_f32 v6, v6, v1, v8
.LBB68_10:                              ;   in Loop: Header=BB68_4 Depth=1
	v_div_fixup_f32 v22, v21, v13, 1.0
	s_cbranch_execnz .LBB68_12
.LBB68_11:                              ;   in Loop: Header=BB68_4 Depth=1
	s_waitcnt vmcnt(0)
	v_pk_fma_f32 v[6:7], v[8:9], v[14:15], v[8:9] op_sel:[0,0,1] op_sel_hi:[1,1,0]
	v_pk_fma_f32 v[8:9], v[8:9], v[14:15], v[8:9] op_sel:[0,0,1] op_sel_hi:[1,0,0] neg_lo:[0,0,1] neg_hi:[0,0,1]
	v_mov_b32_e32 v7, v9
	v_pk_mul_f32 v[6:7], v[6:7], v[22:23] op_sel_hi:[1,0]
.LBB68_12:                              ;   in Loop: Header=BB68_4 Depth=1
	s_waitcnt vmcnt(0)
	v_cndmask_b32_e64 v8, 0, 1, s[2:3]
	v_cmp_ne_u32_e64 s[0:1], 1, v8
	s_andn2_b64 vcc, exec, s[2:3]
	s_cbranch_vccnz .LBB68_15
; %bb.13:                               ;   in Loop: Header=BB68_4 Depth=1
	s_andn2_b64 vcc, exec, s[38:39]
	s_cbranch_vccnz .LBB68_16
; %bb.14:                               ;   in Loop: Header=BB68_4 Depth=1
	v_pk_mul_f32 v[8:9], v[10:11], v[12:13] op_sel_hi:[1,0]
	v_pk_add_f32 v[24:25], v[10:11], v[8:9] op_sel:[0,1] op_sel_hi:[1,0]
	v_pk_add_f32 v[8:9], v[10:11], v[8:9] op_sel:[0,1] op_sel_hi:[1,0] neg_lo:[0,1] neg_hi:[0,1]
	v_mov_b32_e32 v25, v9
	v_pk_mul_f32 v[8:9], v[24:25], v[20:21] op_sel_hi:[1,0]
	s_cbranch_execz .LBB68_17
	s_branch .LBB68_18
.LBB68_15:                              ;   in Loop: Header=BB68_4 Depth=1
	s_branch .LBB68_19
.LBB68_16:                              ;   in Loop: Header=BB68_4 Depth=1
.LBB68_17:                              ;   in Loop: Header=BB68_4 Depth=1
	v_div_scale_f32 v8, s[2:3], v17, v17, v11
	v_rcp_f32_e32 v9, v8
	v_div_scale_f32 v13, vcc, v11, v17, v11
	v_fma_f32 v21, -v8, v9, 1.0
	v_fmac_f32_e32 v9, v21, v9
	v_mul_f32_e32 v21, v13, v9
	v_fma_f32 v23, -v8, v21, v13
	v_fmac_f32_e32 v21, v23, v9
	v_fma_f32 v8, -v8, v21, v13
	v_div_scale_f32 v13, s[2:3], v1, v1, v10
	v_rcp_f32_e32 v23, v13
	v_div_fmas_f32 v8, v8, v9, v21
	v_div_fixup_f32 v9, v8, v17, v11
	v_fma_f32 v8, -v13, v23, 1.0
	v_fmac_f32_e32 v23, v8, v23
	v_div_scale_f32 v8, vcc, v10, v1, v10
	v_mul_f32_e32 v21, v8, v23
	v_fma_f32 v24, -v13, v21, v8
	v_fmac_f32_e32 v21, v24, v23
	v_fma_f32 v8, -v13, v21, v8
	v_div_fmas_f32 v8, v8, v23, v21
	v_div_fixup_f32 v8, v8, v1, v10
.LBB68_18:                              ;   in Loop: Header=BB68_4 Depth=1
	s_cbranch_execnz .LBB68_20
.LBB68_19:                              ;   in Loop: Header=BB68_4 Depth=1
	v_pk_fma_f32 v[8:9], v[10:11], v[14:15], v[10:11] op_sel:[0,0,1] op_sel_hi:[1,1,0]
	v_pk_fma_f32 v[10:11], v[10:11], v[14:15], v[10:11] op_sel:[0,0,1] op_sel_hi:[1,0,0] neg_lo:[0,0,1] neg_hi:[0,0,1]
	v_mov_b32_e32 v9, v11
	v_pk_mul_f32 v[8:9], v[8:9], v[22:23] op_sel_hi:[1,0]
.LBB68_20:                              ;   in Loop: Header=BB68_4 Depth=1
	s_and_b64 vcc, exec, s[0:1]
	s_cbranch_vccnz .LBB68_23
; %bb.21:                               ;   in Loop: Header=BB68_4 Depth=1
	s_andn2_b64 vcc, exec, s[38:39]
	s_cbranch_vccnz .LBB68_24
; %bb.22:                               ;   in Loop: Header=BB68_4 Depth=1
	v_pk_mul_f32 v[10:11], v[2:3], v[12:13] op_sel_hi:[1,0]
	v_pk_add_f32 v[24:25], v[2:3], v[10:11] op_sel:[0,1] op_sel_hi:[1,0]
	v_pk_add_f32 v[10:11], v[2:3], v[10:11] op_sel:[0,1] op_sel_hi:[1,0] neg_lo:[0,1] neg_hi:[0,1]
	v_mov_b32_e32 v25, v11
	v_pk_mul_f32 v[10:11], v[24:25], v[20:21] op_sel_hi:[1,0]
	s_cbranch_execz .LBB68_25
	s_branch .LBB68_26
.LBB68_23:                              ;   in Loop: Header=BB68_4 Depth=1
                                        ; implicit-def: $vgpr10_vgpr11
	s_branch .LBB68_27
.LBB68_24:                              ;   in Loop: Header=BB68_4 Depth=1
                                        ; implicit-def: $vgpr10_vgpr11
.LBB68_25:                              ;   in Loop: Header=BB68_4 Depth=1
	v_div_scale_f32 v10, s[2:3], v17, v17, v3
	v_rcp_f32_e32 v11, v10
	v_div_scale_f32 v13, vcc, v3, v17, v3
	v_fma_f32 v21, -v10, v11, 1.0
	v_fmac_f32_e32 v11, v21, v11
	v_mul_f32_e32 v21, v13, v11
	v_fma_f32 v23, -v10, v21, v13
	v_fmac_f32_e32 v21, v23, v11
	v_fma_f32 v10, -v10, v21, v13
	v_div_scale_f32 v13, s[2:3], v1, v1, v2
	v_rcp_f32_e32 v23, v13
	v_div_fmas_f32 v10, v10, v11, v21
	v_div_fixup_f32 v11, v10, v17, v3
	v_fma_f32 v10, -v13, v23, 1.0
	v_fmac_f32_e32 v23, v10, v23
	v_div_scale_f32 v10, vcc, v2, v1, v2
	v_mul_f32_e32 v21, v10, v23
	v_fma_f32 v24, -v13, v21, v10
	v_fmac_f32_e32 v21, v24, v23
	v_fma_f32 v10, -v13, v21, v10
	v_div_fmas_f32 v10, v10, v23, v21
	v_div_fixup_f32 v10, v10, v1, v2
.LBB68_26:                              ;   in Loop: Header=BB68_4 Depth=1
	s_cbranch_execnz .LBB68_28
.LBB68_27:                              ;   in Loop: Header=BB68_4 Depth=1
	v_pk_fma_f32 v[10:11], v[2:3], v[14:15], v[2:3] op_sel:[0,0,1] op_sel_hi:[1,1,0]
	v_pk_fma_f32 v[2:3], v[2:3], v[14:15], v[2:3] op_sel:[0,0,1] op_sel_hi:[1,0,0] neg_lo:[0,0,1] neg_hi:[0,0,1]
	v_mov_b32_e32 v11, v3
	v_pk_mul_f32 v[10:11], v[10:11], v[22:23] op_sel_hi:[1,0]
.LBB68_28:                              ;   in Loop: Header=BB68_4 Depth=1
	s_and_b64 vcc, exec, s[0:1]
	s_cbranch_vccnz .LBB68_31
; %bb.29:                               ;   in Loop: Header=BB68_4 Depth=1
	s_andn2_b64 vcc, exec, s[38:39]
	s_cbranch_vccnz .LBB68_32
; %bb.30:                               ;   in Loop: Header=BB68_4 Depth=1
	v_pk_mul_f32 v[2:3], v[4:5], v[12:13] op_sel_hi:[1,0]
	v_pk_add_f32 v[12:13], v[4:5], v[2:3] op_sel:[0,1] op_sel_hi:[1,0]
	v_pk_add_f32 v[2:3], v[4:5], v[2:3] op_sel:[0,1] op_sel_hi:[1,0] neg_lo:[0,1] neg_hi:[0,1]
	v_mov_b32_e32 v13, v3
	v_pk_mul_f32 v[12:13], v[12:13], v[20:21] op_sel_hi:[1,0]
	s_cbranch_execz .LBB68_33
	s_branch .LBB68_34
.LBB68_31:                              ;   in Loop: Header=BB68_4 Depth=1
	s_branch .LBB68_35
.LBB68_32:                              ;   in Loop: Header=BB68_4 Depth=1
.LBB68_33:                              ;   in Loop: Header=BB68_4 Depth=1
	v_div_scale_f32 v2, s[0:1], v17, v17, v5
	v_rcp_f32_e32 v3, v2
	v_div_scale_f32 v12, vcc, v5, v17, v5
	v_fma_f32 v13, -v2, v3, 1.0
	v_fmac_f32_e32 v3, v13, v3
	v_mul_f32_e32 v13, v12, v3
	v_fma_f32 v20, -v2, v13, v12
	v_fmac_f32_e32 v13, v20, v3
	v_fma_f32 v2, -v2, v13, v12
	v_div_scale_f32 v12, s[0:1], v1, v1, v4
	v_rcp_f32_e32 v20, v12
	v_div_fmas_f32 v2, v2, v3, v13
	v_div_fixup_f32 v13, v2, v17, v5
	v_fma_f32 v2, -v12, v20, 1.0
	v_fmac_f32_e32 v20, v2, v20
	v_div_scale_f32 v2, vcc, v4, v1, v4
	v_mul_f32_e32 v3, v2, v20
	v_fma_f32 v17, -v12, v3, v2
	v_fmac_f32_e32 v3, v17, v20
	v_fma_f32 v2, -v12, v3, v2
	v_div_fmas_f32 v2, v2, v20, v3
	v_div_fixup_f32 v12, v2, v1, v4
.LBB68_34:                              ;   in Loop: Header=BB68_4 Depth=1
	s_cbranch_execnz .LBB68_3
.LBB68_35:                              ;   in Loop: Header=BB68_4 Depth=1
	v_pk_fma_f32 v[2:3], v[4:5], v[14:15], v[4:5] op_sel:[0,0,1] op_sel_hi:[1,1,0]
	v_pk_fma_f32 v[4:5], v[4:5], v[14:15], v[4:5] op_sel:[0,0,1] op_sel_hi:[1,0,0] neg_lo:[0,0,1] neg_hi:[0,0,1]
	v_mov_b32_e32 v3, v5
	v_pk_mul_f32 v[12:13], v[2:3], v[22:23] op_sel_hi:[1,0]
	s_branch .LBB68_3
.LBB68_36:
	s_or_b64 exec, exec, s[26:27]
	s_mov_b64 s[0:1], 0
.LBB68_37:
	s_andn2_b64 vcc, exec, s[0:1]
	s_cbranch_vccnz .LBB68_89
; %bb.38:
	v_cmp_lt_i64_e64 s[0:1], s[22:23], 1
	s_and_b64 vcc, exec, s[0:1]
	s_cbranch_vccnz .LBB68_89
; %bb.39:
	s_load_dword s0, s[4:5], 0xc6c
	v_mov_b32_e32 v4, 0x10000
	v_mov_b32_e32 v5, 0
	v_cmp_lt_u64_e32 vcc, s[22:23], v[4:5]
	v_lshlrev_b32_e32 v2, 3, v0
	s_waitcnt lgkmcnt(0)
	s_and_b32 s2, s0, 0xffff
	s_and_b64 s[0:1], vcc, exec
	v_mov_b32_e32 v15, s15
	v_add_co_u32_e32 v4, vcc, s14, v2
	v_addc_co_u32_e32 v1, vcc, 0, v15, vcc
	v_mov_b32_e32 v3, 0
	v_mov_b32_e32 v17, s13
	v_add_co_u32_e32 v6, vcc, s12, v2
	v_addc_co_u32_e32 v5, vcc, 0, v17, vcc
	v_mad_u64_u32 v[10:11], s[0:1], s2, 24, v[2:3]
	v_add_co_u32_e32 v8, vcc, s14, v10
	v_addc_co_u32_e32 v7, vcc, v15, v11, vcc
	v_add_co_u32_e32 v10, vcc, s12, v10
	s_mul_i32 s4, s2, 3
	v_addc_co_u32_e32 v9, vcc, v17, v11, vcc
	v_add_co_u32_e32 v29, vcc, s4, v0
	v_addc_co_u32_e64 v31, s[0:1], 0, 0, vcc
	s_cselect_b32 s25, s23, 0
	s_cselect_b32 s24, s22, 0x10000
	s_lshl_b32 s0, s2, 4
	v_add_co_u32_e32 v12, vcc, s0, v2
	v_addc_co_u32_e64 v13, s[0:1], 0, 0, vcc
	v_add_co_u32_e32 v2, vcc, s14, v12
	v_addc_co_u32_e32 v11, vcc, v15, v13, vcc
	v_add_co_u32_e32 v12, vcc, s12, v12
	s_lshl_b32 s3, s2, 1
	v_addc_co_u32_e32 v13, vcc, v17, v13, vcc
	v_add_co_u32_e32 v33, vcc, s3, v0
	v_addc_co_u32_e64 v36, s[0:1], 0, 0, vcc
	v_add_co_u32_e32 v37, vcc, s2, v0
	v_lshlrev_b32_e32 v16, 3, v37
	v_addc_co_u32_e64 v38, s[0:1], 0, 0, vcc
	v_add_co_u32_e32 v14, vcc, s14, v16
	v_addc_co_u32_e32 v15, vcc, 0, v15, vcc
	v_add_co_u32_e32 v16, vcc, s12, v16
	s_mov_b32 s33, 0
	s_lshl_b32 s34, s2, 2
	s_mov_b32 s26, s18
	s_mov_b32 s27, s18
	;; [unrolled: 1-line block ×3, first 2 shown]
	s_lshl_b32 s35, s2, 5
	v_addc_co_u32_e32 v17, vcc, 0, v17, vcc
	s_mov_b64 s[28:29], 0
	s_branch .LBB68_41
.LBB68_40:                              ;   in Loop: Header=BB68_41 Depth=1
	s_or_b64 exec, exec, s[0:1]
	s_add_u32 s28, s28, s34
	s_addc_u32 s29, s29, 0
	v_pk_mov_b32 v[18:19], s[22:23], s[22:23] op_sel:[0,1]
	v_cmp_ge_i64_e32 vcc, s[28:29], v[18:19]
	v_mov_b32_e32 v18, 0xffff
	v_mov_b32_e32 v19, 0
	v_cmp_gt_u64_e64 s[0:1], s[28:29], v[18:19]
	s_or_b64 s[0:1], vcc, s[0:1]
	v_mov_b32_e32 v18, s33
	v_add_co_u32_e32 v4, vcc, s35, v4
	v_addc_co_u32_e32 v1, vcc, v1, v18, vcc
	v_add_co_u32_e32 v6, vcc, s35, v6
	v_addc_co_u32_e32 v5, vcc, v5, v18, vcc
	;; [unrolled: 2-line block ×8, first 2 shown]
	s_and_b64 vcc, exec, s[0:1]
	s_cbranch_vccnz .LBB68_89
.LBB68_41:                              ; =>This Inner Loop Header: Depth=1
	v_mov_b32_e32 v19, s29
	v_add_co_u32_e32 v18, vcc, s28, v0
	v_addc_co_u32_e32 v19, vcc, 0, v19, vcc
	v_cmp_gt_u64_e64 s[0:1], s[24:25], v[18:19]
	v_mov_b32_e32 v34, 0
	v_mov_b32_e32 v35, 0
	s_and_saveexec_b64 s[2:3], s[0:1]
	s_cbranch_execz .LBB68_43
; %bb.42:                               ;   in Loop: Header=BB68_41 Depth=1
	v_mov_b32_e32 v19, s21
	v_add_co_u32_e32 v18, vcc, s20, v4
	v_addc_co_u32_e32 v19, vcc, v1, v19, vcc
	global_load_dwordx2 v[34:35], v[18:19], off
.LBB68_43:                              ;   in Loop: Header=BB68_41 Depth=1
	s_or_b64 exec, exec, s[2:3]
	v_mov_b32_e32 v19, s29
	v_add_co_u32_e32 v18, vcc, s28, v37
	v_addc_co_u32_e32 v19, vcc, v38, v19, vcc
	v_cmp_gt_u64_e64 s[2:3], s[24:25], v[18:19]
	v_mov_b32_e32 v20, 0
	v_mov_b32_e32 v24, 0
	;; [unrolled: 1-line block ×3, first 2 shown]
	s_and_saveexec_b64 s[4:5], s[2:3]
	s_cbranch_execz .LBB68_45
; %bb.44:                               ;   in Loop: Header=BB68_41 Depth=1
	v_mov_b32_e32 v19, s21
	v_add_co_u32_e32 v18, vcc, s20, v14
	v_addc_co_u32_e32 v19, vcc, v15, v19, vcc
	global_load_dwordx2 v[24:25], v[18:19], off
.LBB68_45:                              ;   in Loop: Header=BB68_41 Depth=1
	s_or_b64 exec, exec, s[4:5]
	v_mov_b32_e32 v19, s29
	v_add_co_u32_e32 v18, vcc, s28, v33
	v_addc_co_u32_e32 v19, vcc, v36, v19, vcc
	v_cmp_gt_u64_e64 s[4:5], s[24:25], v[18:19]
	v_mov_b32_e32 v21, 0
	s_and_saveexec_b64 s[6:7], s[4:5]
	s_cbranch_execz .LBB68_47
; %bb.46:                               ;   in Loop: Header=BB68_41 Depth=1
	v_mov_b32_e32 v19, s21
	v_add_co_u32_e32 v18, vcc, s20, v2
	v_addc_co_u32_e32 v19, vcc, v11, v19, vcc
	global_load_dwordx2 v[20:21], v[18:19], off
.LBB68_47:                              ;   in Loop: Header=BB68_41 Depth=1
	s_or_b64 exec, exec, s[6:7]
	v_mov_b32_e32 v19, s29
	v_add_co_u32_e32 v18, vcc, s28, v29
	v_addc_co_u32_e32 v19, vcc, v31, v19, vcc
	v_cmp_gt_u64_e64 s[6:7], s[24:25], v[18:19]
	v_mov_b32_e32 v18, 0
	v_mov_b32_e32 v19, v18
	s_and_saveexec_b64 s[8:9], s[6:7]
	s_cbranch_execz .LBB68_49
; %bb.48:                               ;   in Loop: Header=BB68_41 Depth=1
	v_mov_b32_e32 v19, s21
	v_add_co_u32_e32 v18, vcc, s20, v8
	v_addc_co_u32_e32 v19, vcc, v7, v19, vcc
	global_load_dwordx2 v[18:19], v[18:19], off
.LBB68_49:                              ;   in Loop: Header=BB68_41 Depth=1
	s_or_b64 exec, exec, s[8:9]
	global_load_dwordx2 v[22:23], v3, s[16:17]
	s_waitcnt vmcnt(0)
	v_pk_mul_f32 v[26:27], v[22:23], s[18:19]
	v_pk_fma_f32 v[42:43], v[22:23], s[26:27], v[26:27] op_sel:[0,0,1] op_sel_hi:[1,1,0] neg_lo:[0,0,1] neg_hi:[0,0,1]
	v_pk_fma_f32 v[22:23], v[22:23], s[26:27], v[26:27] op_sel:[0,0,1] op_sel_hi:[1,1,0]
	v_div_scale_f32 v22, s[10:11], v42, v42, v23
	v_rcp_f32_e32 v28, v22
	v_div_scale_f32 v26, s[12:13], v23, v42, v23
	v_cmp_gt_f32_e32 vcc, 0, v23
	v_fma_f32 v41, -v22, v28, 1.0
	v_fmac_f32_e32 v28, v41, v28
	v_mul_f32_e32 v41, v26, v28
	v_cndmask_b32_e64 v40, v23, -v23, vcc
	v_cmp_gt_f32_e32 vcc, 0, v42
	v_fma_f32 v44, -v22, v41, v26
	v_cndmask_b32_e64 v39, v42, -v42, vcc
	v_cmp_neq_f32_e32 vcc, 0, v42
	v_cmp_neq_f32_e64 s[8:9], 0, v23
	v_fmac_f32_e32 v41, v44, v28
	v_div_scale_f32 v27, s[10:11], v23, v23, v42
	s_or_b64 s[30:31], vcc, s[8:9]
	v_fma_f32 v22, -v22, v41, v26
	s_mov_b64 vcc, s[12:13]
	v_rcp_f32_e32 v32, v27
	v_div_fmas_f32 v22, v22, v28, v41
	v_div_fixup_f32 v28, v22, v42, v23
	v_fma_f32 v26, v23, v28, v42
	v_div_scale_f32 v22, s[12:13], v26, v26, 1.0
	v_fma_f32 v43, -v27, v32, 1.0
	v_rcp_f32_e32 v41, v22
	v_div_scale_f32 v30, s[14:15], v42, v23, v42
	v_fmac_f32_e32 v32, v43, v32
	v_mul_f32_e32 v43, v30, v32
	v_fma_f32 v45, -v27, v43, v30
	v_fmac_f32_e32 v43, v45, v32
	v_fma_f32 v44, -v22, v41, 1.0
	v_fma_f32 v27, -v27, v43, v30
	v_div_scale_f32 v30, vcc, 1.0, v26, 1.0
	v_fmac_f32_e32 v41, v44, v41
	v_mul_f32_e32 v44, v30, v41
	v_fma_f32 v45, -v22, v44, v30
	v_fmac_f32_e32 v44, v45, v41
	v_fma_f32 v22, -v22, v44, v30
	v_div_fmas_f32 v30, v22, v41, v44
	s_mov_b64 vcc, s[14:15]
	v_div_fmas_f32 v22, v27, v32, v43
	v_div_fixup_f32 v22, v22, v23, v42
	v_fmac_f32_e32 v23, v42, v22
	v_div_scale_f32 v27, s[12:13], v23, v23, 1.0
	v_rcp_f32_e32 v32, v27
	v_div_fixup_f32 v30, v30, v26, 1.0
	v_div_scale_f32 v26, vcc, 1.0, v23, 1.0
	v_fma_f32 v41, -v27, v32, 1.0
	v_fmac_f32_e32 v32, v41, v32
	v_mul_f32_e32 v41, v26, v32
	v_fma_f32 v42, -v27, v41, v26
	v_cmp_ge_f32_e64 s[10:11], v39, v40
	v_fmac_f32_e32 v41, v42, v32
	s_and_b64 s[8:9], exec, s[10:11]
	v_fma_f32 v26, -v27, v41, v26
	v_div_fmas_f32 v32, v26, v32, v41
	s_mov_b64 vcc, s[8:9]
	s_cbranch_vccz .LBB68_52
; %bb.50:                               ;   in Loop: Header=BB68_41 Depth=1
	s_and_b64 vcc, exec, s[30:31]
	s_cbranch_vccz .LBB68_53
; %bb.51:                               ;   in Loop: Header=BB68_41 Depth=1
	v_pk_mul_f32 v[26:27], v[34:35], v[28:29] op_sel_hi:[1,0]
	v_pk_add_f32 v[42:43], v[34:35], v[26:27] op_sel:[0,1] op_sel_hi:[1,0]
	v_pk_add_f32 v[26:27], v[34:35], v[26:27] op_sel:[0,1] op_sel_hi:[1,0] neg_lo:[0,1] neg_hi:[0,1]
	v_mov_b32_e32 v43, v27
	v_pk_mul_f32 v[26:27], v[42:43], v[30:31] op_sel_hi:[1,0]
	s_cbranch_execz .LBB68_54
	s_branch .LBB68_55
.LBB68_52:                              ;   in Loop: Header=BB68_41 Depth=1
                                        ; implicit-def: $vgpr26_vgpr27
	v_div_fixup_f32 v32, v32, v23, 1.0
	s_branch .LBB68_56
.LBB68_53:                              ;   in Loop: Header=BB68_41 Depth=1
                                        ; implicit-def: $vgpr26_vgpr27
.LBB68_54:                              ;   in Loop: Header=BB68_41 Depth=1
	v_div_scale_f32 v26, s[8:9], v40, v40, v35
	v_rcp_f32_e32 v27, v26
	v_div_scale_f32 v41, vcc, v35, v40, v35
	v_fma_f32 v42, -v26, v27, 1.0
	v_fmac_f32_e32 v27, v42, v27
	v_mul_f32_e32 v42, v41, v27
	v_fma_f32 v43, -v26, v42, v41
	v_fmac_f32_e32 v42, v43, v27
	v_fma_f32 v26, -v26, v42, v41
	v_div_scale_f32 v41, s[8:9], v39, v39, v34
	v_rcp_f32_e32 v43, v41
	v_div_fmas_f32 v26, v26, v27, v42
	v_div_fixup_f32 v27, v26, v40, v35
	v_fma_f32 v26, -v41, v43, 1.0
	v_fmac_f32_e32 v43, v26, v43
	v_div_scale_f32 v26, vcc, v34, v39, v34
	v_mul_f32_e32 v42, v26, v43
	v_fma_f32 v44, -v41, v42, v26
	v_fmac_f32_e32 v42, v44, v43
	v_fma_f32 v26, -v41, v42, v26
	v_div_fmas_f32 v26, v26, v43, v42
	v_div_fixup_f32 v26, v26, v39, v34
.LBB68_55:                              ;   in Loop: Header=BB68_41 Depth=1
	v_div_fixup_f32 v32, v32, v23, 1.0
	s_cbranch_execnz .LBB68_57
.LBB68_56:                              ;   in Loop: Header=BB68_41 Depth=1
	v_pk_fma_f32 v[26:27], v[34:35], v[22:23], v[34:35] op_sel:[0,0,1] op_sel_hi:[1,1,0]
	v_pk_fma_f32 v[34:35], v[34:35], v[22:23], v[34:35] op_sel:[0,0,1] op_sel_hi:[1,0,0] neg_lo:[0,0,1] neg_hi:[0,0,1]
	v_mov_b32_e32 v27, v35
	v_pk_mul_f32 v[26:27], v[26:27], v[32:33] op_sel_hi:[1,0]
.LBB68_57:                              ;   in Loop: Header=BB68_41 Depth=1
	v_cndmask_b32_e64 v23, 0, 1, s[10:11]
	v_cmp_ne_u32_e64 s[8:9], 1, v23
	s_andn2_b64 vcc, exec, s[10:11]
	v_cndmask_b32_e64 v23, 0, 1, s[30:31]
	s_cbranch_vccnz .LBB68_60
; %bb.58:                               ;   in Loop: Header=BB68_41 Depth=1
	s_andn2_b64 vcc, exec, s[30:31]
	s_cbranch_vccnz .LBB68_61
; %bb.59:                               ;   in Loop: Header=BB68_41 Depth=1
	v_pk_mul_f32 v[34:35], v[24:25], v[28:29] op_sel_hi:[1,0]
	v_pk_add_f32 v[42:43], v[24:25], v[34:35] op_sel:[0,1] op_sel_hi:[1,0]
	v_pk_add_f32 v[34:35], v[24:25], v[34:35] op_sel:[0,1] op_sel_hi:[1,0] neg_lo:[0,1] neg_hi:[0,1]
	v_mov_b32_e32 v43, v35
	v_pk_mul_f32 v[34:35], v[42:43], v[30:31] op_sel_hi:[1,0]
	s_cbranch_execz .LBB68_62
	s_branch .LBB68_63
.LBB68_60:                              ;   in Loop: Header=BB68_41 Depth=1
                                        ; implicit-def: $vgpr34_vgpr35
	s_branch .LBB68_64
.LBB68_61:                              ;   in Loop: Header=BB68_41 Depth=1
                                        ; implicit-def: $vgpr34_vgpr35
.LBB68_62:                              ;   in Loop: Header=BB68_41 Depth=1
	v_div_scale_f32 v34, s[10:11], v40, v40, v25
	v_rcp_f32_e32 v35, v34
	v_div_scale_f32 v41, vcc, v25, v40, v25
	v_fma_f32 v42, -v34, v35, 1.0
	v_fmac_f32_e32 v35, v42, v35
	v_mul_f32_e32 v42, v41, v35
	v_fma_f32 v43, -v34, v42, v41
	v_fmac_f32_e32 v42, v43, v35
	v_fma_f32 v34, -v34, v42, v41
	v_div_scale_f32 v41, s[10:11], v39, v39, v24
	v_rcp_f32_e32 v43, v41
	v_div_fmas_f32 v34, v34, v35, v42
	v_div_fixup_f32 v35, v34, v40, v25
	v_fma_f32 v34, -v41, v43, 1.0
	v_fmac_f32_e32 v43, v34, v43
	v_div_scale_f32 v34, vcc, v24, v39, v24
	v_mul_f32_e32 v42, v34, v43
	v_fma_f32 v44, -v41, v42, v34
	v_fmac_f32_e32 v42, v44, v43
	v_fma_f32 v34, -v41, v42, v34
	v_div_fmas_f32 v34, v34, v43, v42
	v_div_fixup_f32 v34, v34, v39, v24
.LBB68_63:                              ;   in Loop: Header=BB68_41 Depth=1
	s_cbranch_execnz .LBB68_65
.LBB68_64:                              ;   in Loop: Header=BB68_41 Depth=1
	v_pk_fma_f32 v[34:35], v[24:25], v[22:23], v[24:25] op_sel:[0,0,1] op_sel_hi:[1,1,0]
	v_pk_fma_f32 v[24:25], v[24:25], v[22:23], v[24:25] op_sel:[0,0,1] op_sel_hi:[1,0,0] neg_lo:[0,0,1] neg_hi:[0,0,1]
	v_mov_b32_e32 v35, v25
	v_pk_mul_f32 v[34:35], v[34:35], v[32:33] op_sel_hi:[1,0]
.LBB68_65:                              ;   in Loop: Header=BB68_41 Depth=1
	s_and_b64 vcc, exec, s[8:9]
	s_cbranch_vccnz .LBB68_68
; %bb.66:                               ;   in Loop: Header=BB68_41 Depth=1
	v_cmp_ne_u32_e32 vcc, 1, v23
	s_cbranch_vccnz .LBB68_69
; %bb.67:                               ;   in Loop: Header=BB68_41 Depth=1
	v_pk_mul_f32 v[24:25], v[20:21], v[28:29] op_sel_hi:[1,0]
	v_pk_add_f32 v[42:43], v[20:21], v[24:25] op_sel:[0,1] op_sel_hi:[1,0]
	v_pk_add_f32 v[24:25], v[20:21], v[24:25] op_sel:[0,1] op_sel_hi:[1,0] neg_lo:[0,1] neg_hi:[0,1]
	v_mov_b32_e32 v43, v25
	v_pk_mul_f32 v[24:25], v[42:43], v[30:31] op_sel_hi:[1,0]
	s_cbranch_execz .LBB68_70
	s_branch .LBB68_71
.LBB68_68:                              ;   in Loop: Header=BB68_41 Depth=1
                                        ; implicit-def: $vgpr24_vgpr25
	s_branch .LBB68_72
.LBB68_69:                              ;   in Loop: Header=BB68_41 Depth=1
                                        ; implicit-def: $vgpr24_vgpr25
.LBB68_70:                              ;   in Loop: Header=BB68_41 Depth=1
	v_div_scale_f32 v24, s[10:11], v40, v40, v21
	v_rcp_f32_e32 v25, v24
	v_div_scale_f32 v41, vcc, v21, v40, v21
	v_fma_f32 v42, -v24, v25, 1.0
	v_fmac_f32_e32 v25, v42, v25
	v_mul_f32_e32 v42, v41, v25
	v_fma_f32 v43, -v24, v42, v41
	v_fmac_f32_e32 v42, v43, v25
	v_fma_f32 v24, -v24, v42, v41
	v_div_scale_f32 v41, s[10:11], v39, v39, v20
	v_rcp_f32_e32 v43, v41
	v_div_fmas_f32 v24, v24, v25, v42
	v_div_fixup_f32 v25, v24, v40, v21
	v_fma_f32 v24, -v41, v43, 1.0
	v_fmac_f32_e32 v43, v24, v43
	v_div_scale_f32 v24, vcc, v20, v39, v20
	v_mul_f32_e32 v42, v24, v43
	v_fma_f32 v44, -v41, v42, v24
	v_fmac_f32_e32 v42, v44, v43
	v_fma_f32 v24, -v41, v42, v24
	v_div_fmas_f32 v24, v24, v43, v42
	v_div_fixup_f32 v24, v24, v39, v20
.LBB68_71:                              ;   in Loop: Header=BB68_41 Depth=1
	s_cbranch_execnz .LBB68_73
.LBB68_72:                              ;   in Loop: Header=BB68_41 Depth=1
	v_pk_fma_f32 v[24:25], v[20:21], v[22:23], v[20:21] op_sel:[0,0,1] op_sel_hi:[1,1,0]
	v_pk_fma_f32 v[20:21], v[20:21], v[22:23], v[20:21] op_sel:[0,0,1] op_sel_hi:[1,0,0] neg_lo:[0,0,1] neg_hi:[0,0,1]
	v_mov_b32_e32 v25, v21
	v_pk_mul_f32 v[24:25], v[24:25], v[32:33] op_sel_hi:[1,0]
.LBB68_73:                              ;   in Loop: Header=BB68_41 Depth=1
	s_and_b64 vcc, exec, s[8:9]
	s_cbranch_vccnz .LBB68_76
; %bb.74:                               ;   in Loop: Header=BB68_41 Depth=1
	v_cmp_ne_u32_e32 vcc, 1, v23
	s_cbranch_vccnz .LBB68_77
; %bb.75:                               ;   in Loop: Header=BB68_41 Depth=1
	v_pk_mul_f32 v[20:21], v[18:19], v[28:29] op_sel_hi:[1,0]
	v_pk_add_f32 v[42:43], v[18:19], v[20:21] op_sel:[0,1] op_sel_hi:[1,0]
	v_pk_add_f32 v[20:21], v[18:19], v[20:21] op_sel:[0,1] op_sel_hi:[1,0] neg_lo:[0,1] neg_hi:[0,1]
	v_mov_b32_e32 v43, v21
	v_pk_mul_f32 v[20:21], v[42:43], v[30:31] op_sel_hi:[1,0]
	s_cbranch_execz .LBB68_78
	s_branch .LBB68_79
.LBB68_76:                              ;   in Loop: Header=BB68_41 Depth=1
                                        ; implicit-def: $vgpr20_vgpr21
	s_branch .LBB68_80
.LBB68_77:                              ;   in Loop: Header=BB68_41 Depth=1
                                        ; implicit-def: $vgpr20_vgpr21
.LBB68_78:                              ;   in Loop: Header=BB68_41 Depth=1
	v_div_scale_f32 v20, s[8:9], v40, v40, v19
	v_rcp_f32_e32 v21, v20
	v_div_scale_f32 v23, vcc, v19, v40, v19
	v_fma_f32 v28, -v20, v21, 1.0
	v_fmac_f32_e32 v21, v28, v21
	v_mul_f32_e32 v28, v23, v21
	v_fma_f32 v30, -v20, v28, v23
	v_fmac_f32_e32 v28, v30, v21
	v_fma_f32 v20, -v20, v28, v23
	v_div_scale_f32 v23, s[8:9], v39, v39, v18
	v_rcp_f32_e32 v30, v23
	v_div_fmas_f32 v20, v20, v21, v28
	v_div_fixup_f32 v21, v20, v40, v19
	v_fma_f32 v20, -v23, v30, 1.0
	v_fmac_f32_e32 v30, v20, v30
	v_div_scale_f32 v20, vcc, v18, v39, v18
	v_mul_f32_e32 v28, v20, v30
	v_fma_f32 v40, -v23, v28, v20
	v_fmac_f32_e32 v28, v40, v30
	v_fma_f32 v20, -v23, v28, v20
	v_div_fmas_f32 v20, v20, v30, v28
	v_div_fixup_f32 v20, v20, v39, v18
.LBB68_79:                              ;   in Loop: Header=BB68_41 Depth=1
	s_cbranch_execnz .LBB68_81
.LBB68_80:                              ;   in Loop: Header=BB68_41 Depth=1
	v_pk_fma_f32 v[20:21], v[18:19], v[22:23], v[18:19] op_sel:[0,0,1] op_sel_hi:[1,1,0]
	v_pk_fma_f32 v[18:19], v[18:19], v[22:23], v[18:19] op_sel:[0,0,1] op_sel_hi:[1,0,0] neg_lo:[0,0,1] neg_hi:[0,0,1]
	v_mov_b32_e32 v21, v19
	v_pk_mul_f32 v[20:21], v[20:21], v[32:33] op_sel_hi:[1,0]
.LBB68_81:                              ;   in Loop: Header=BB68_41 Depth=1
	s_and_saveexec_b64 s[8:9], s[0:1]
	s_xor_b64 s[0:1], exec, s[8:9]
	s_cbranch_execnz .LBB68_85
; %bb.82:                               ;   in Loop: Header=BB68_41 Depth=1
	s_or_b64 exec, exec, s[0:1]
	s_and_saveexec_b64 s[0:1], s[2:3]
	s_cbranch_execnz .LBB68_86
.LBB68_83:                              ;   in Loop: Header=BB68_41 Depth=1
	s_or_b64 exec, exec, s[0:1]
	s_and_saveexec_b64 s[0:1], s[4:5]
	s_cbranch_execnz .LBB68_87
.LBB68_84:                              ;   in Loop: Header=BB68_41 Depth=1
	s_or_b64 exec, exec, s[0:1]
	s_and_saveexec_b64 s[0:1], s[6:7]
	s_cbranch_execz .LBB68_40
	s_branch .LBB68_88
.LBB68_85:                              ;   in Loop: Header=BB68_41 Depth=1
	v_mov_b32_e32 v19, s21
	v_add_co_u32_e32 v18, vcc, s20, v6
	v_addc_co_u32_e32 v19, vcc, v5, v19, vcc
	global_store_dwordx2 v[18:19], v[26:27], off
	s_or_b64 exec, exec, s[0:1]
	s_and_saveexec_b64 s[0:1], s[2:3]
	s_cbranch_execz .LBB68_83
.LBB68_86:                              ;   in Loop: Header=BB68_41 Depth=1
	v_mov_b32_e32 v19, s21
	v_add_co_u32_e32 v18, vcc, s20, v16
	v_addc_co_u32_e32 v19, vcc, v17, v19, vcc
	global_store_dwordx2 v[18:19], v[34:35], off
	s_or_b64 exec, exec, s[0:1]
	s_and_saveexec_b64 s[0:1], s[4:5]
	s_cbranch_execz .LBB68_84
.LBB68_87:                              ;   in Loop: Header=BB68_41 Depth=1
	v_mov_b32_e32 v19, s21
	v_add_co_u32_e32 v18, vcc, s20, v12
	v_addc_co_u32_e32 v19, vcc, v13, v19, vcc
	global_store_dwordx2 v[18:19], v[24:25], off
	s_or_b64 exec, exec, s[0:1]
	s_and_saveexec_b64 s[0:1], s[6:7]
	s_cbranch_execz .LBB68_40
.LBB68_88:                              ;   in Loop: Header=BB68_41 Depth=1
	v_mov_b32_e32 v19, s21
	v_add_co_u32_e32 v18, vcc, s20, v10
	v_addc_co_u32_e32 v19, vcc, v9, v19, vcc
	global_store_dwordx2 v[18:19], v[20:21], off
	s_branch .LBB68_40
.LBB68_89:
	s_endpgm
	.section	.rodata,"a",@progbits
	.p2align	6, 0x0
	.amdhsa_kernel _ZN2at6native12_GLOBAL__N_125multi_tensor_apply_kernelINS1_18TensorListMetadataILi2EEENS1_27BinaryOpScalarTensorFunctorIN3c107complexIfEELi2ELi1ELi1EEEJSt7dividesIS8_EPS8_S8_EEEvT_T0_DpT1_
		.amdhsa_group_segment_fixed_size 0
		.amdhsa_private_segment_fixed_size 0
		.amdhsa_kernarg_size 3424
		.amdhsa_user_sgpr_count 6
		.amdhsa_user_sgpr_private_segment_buffer 1
		.amdhsa_user_sgpr_dispatch_ptr 0
		.amdhsa_user_sgpr_queue_ptr 0
		.amdhsa_user_sgpr_kernarg_segment_ptr 1
		.amdhsa_user_sgpr_dispatch_id 0
		.amdhsa_user_sgpr_flat_scratch_init 0
		.amdhsa_user_sgpr_kernarg_preload_length 0
		.amdhsa_user_sgpr_kernarg_preload_offset 0
		.amdhsa_user_sgpr_private_segment_size 0
		.amdhsa_uses_dynamic_stack 0
		.amdhsa_system_sgpr_private_segment_wavefront_offset 0
		.amdhsa_system_sgpr_workgroup_id_x 1
		.amdhsa_system_sgpr_workgroup_id_y 0
		.amdhsa_system_sgpr_workgroup_id_z 0
		.amdhsa_system_sgpr_workgroup_info 0
		.amdhsa_system_vgpr_workitem_id 0
		.amdhsa_next_free_vgpr 46
		.amdhsa_next_free_sgpr 44
		.amdhsa_accum_offset 48
		.amdhsa_reserve_vcc 1
		.amdhsa_reserve_flat_scratch 0
		.amdhsa_float_round_mode_32 0
		.amdhsa_float_round_mode_16_64 0
		.amdhsa_float_denorm_mode_32 3
		.amdhsa_float_denorm_mode_16_64 3
		.amdhsa_dx10_clamp 1
		.amdhsa_ieee_mode 1
		.amdhsa_fp16_overflow 0
		.amdhsa_tg_split 0
		.amdhsa_exception_fp_ieee_invalid_op 0
		.amdhsa_exception_fp_denorm_src 0
		.amdhsa_exception_fp_ieee_div_zero 0
		.amdhsa_exception_fp_ieee_overflow 0
		.amdhsa_exception_fp_ieee_underflow 0
		.amdhsa_exception_fp_ieee_inexact 0
		.amdhsa_exception_int_div_zero 0
	.end_amdhsa_kernel
	.section	.text._ZN2at6native12_GLOBAL__N_125multi_tensor_apply_kernelINS1_18TensorListMetadataILi2EEENS1_27BinaryOpScalarTensorFunctorIN3c107complexIfEELi2ELi1ELi1EEEJSt7dividesIS8_EPS8_S8_EEEvT_T0_DpT1_,"axG",@progbits,_ZN2at6native12_GLOBAL__N_125multi_tensor_apply_kernelINS1_18TensorListMetadataILi2EEENS1_27BinaryOpScalarTensorFunctorIN3c107complexIfEELi2ELi1ELi1EEEJSt7dividesIS8_EPS8_S8_EEEvT_T0_DpT1_,comdat
.Lfunc_end68:
	.size	_ZN2at6native12_GLOBAL__N_125multi_tensor_apply_kernelINS1_18TensorListMetadataILi2EEENS1_27BinaryOpScalarTensorFunctorIN3c107complexIfEELi2ELi1ELi1EEEJSt7dividesIS8_EPS8_S8_EEEvT_T0_DpT1_, .Lfunc_end68-_ZN2at6native12_GLOBAL__N_125multi_tensor_apply_kernelINS1_18TensorListMetadataILi2EEENS1_27BinaryOpScalarTensorFunctorIN3c107complexIfEELi2ELi1ELi1EEEJSt7dividesIS8_EPS8_S8_EEEvT_T0_DpT1_
                                        ; -- End function
	.section	.AMDGPU.csdata,"",@progbits
; Kernel info:
; codeLenInByte = 3996
; NumSgprs: 48
; NumVgprs: 46
; NumAgprs: 0
; TotalNumVgprs: 46
; ScratchSize: 0
; MemoryBound: 0
; FloatMode: 240
; IeeeMode: 1
; LDSByteSize: 0 bytes/workgroup (compile time only)
; SGPRBlocks: 5
; VGPRBlocks: 5
; NumSGPRsForWavesPerEU: 48
; NumVGPRsForWavesPerEU: 46
; AccumOffset: 48
; Occupancy: 8
; WaveLimiterHint : 0
; COMPUTE_PGM_RSRC2:SCRATCH_EN: 0
; COMPUTE_PGM_RSRC2:USER_SGPR: 6
; COMPUTE_PGM_RSRC2:TRAP_HANDLER: 0
; COMPUTE_PGM_RSRC2:TGID_X_EN: 1
; COMPUTE_PGM_RSRC2:TGID_Y_EN: 0
; COMPUTE_PGM_RSRC2:TGID_Z_EN: 0
; COMPUTE_PGM_RSRC2:TIDIG_COMP_CNT: 0
; COMPUTE_PGM_RSRC3_GFX90A:ACCUM_OFFSET: 11
; COMPUTE_PGM_RSRC3_GFX90A:TG_SPLIT: 0
	.section	.text._ZN2at6native12_GLOBAL__N_125multi_tensor_apply_kernelINS1_18TensorListMetadataILi2EEENS1_27BinaryOpScalarTensorFunctorIbLi2ELi1ELi1EEEJSt7dividesIbEPbbEEEvT_T0_DpT1_,"axG",@progbits,_ZN2at6native12_GLOBAL__N_125multi_tensor_apply_kernelINS1_18TensorListMetadataILi2EEENS1_27BinaryOpScalarTensorFunctorIbLi2ELi1ELi1EEEJSt7dividesIbEPbbEEEvT_T0_DpT1_,comdat
	.globl	_ZN2at6native12_GLOBAL__N_125multi_tensor_apply_kernelINS1_18TensorListMetadataILi2EEENS1_27BinaryOpScalarTensorFunctorIbLi2ELi1ELi1EEEJSt7dividesIbEPbbEEEvT_T0_DpT1_ ; -- Begin function _ZN2at6native12_GLOBAL__N_125multi_tensor_apply_kernelINS1_18TensorListMetadataILi2EEENS1_27BinaryOpScalarTensorFunctorIbLi2ELi1ELi1EEEJSt7dividesIbEPbbEEEvT_T0_DpT1_
	.p2align	8
	.type	_ZN2at6native12_GLOBAL__N_125multi_tensor_apply_kernelINS1_18TensorListMetadataILi2EEENS1_27BinaryOpScalarTensorFunctorIbLi2ELi1ELi1EEEJSt7dividesIbEPbbEEEvT_T0_DpT1_,@function
_ZN2at6native12_GLOBAL__N_125multi_tensor_apply_kernelINS1_18TensorListMetadataILi2EEENS1_27BinaryOpScalarTensorFunctorIbLi2ELi1ELi1EEEJSt7dividesIbEPbbEEEvT_T0_DpT1_: ; @_ZN2at6native12_GLOBAL__N_125multi_tensor_apply_kernelINS1_18TensorListMetadataILi2EEENS1_27BinaryOpScalarTensorFunctorIbLi2ELi1ELi1EEEJSt7dividesIbEPbbEEEvT_T0_DpT1_
; %bb.0:
	v_mov_b32_e32 v1, s6
	global_load_ubyte v1, v1, s[4:5] offset:1536
	s_add_u32 s0, s4, s6
	s_mul_hi_u32 s1, s6, 3
	s_mul_i32 s6, s6, 3
	s_addc_u32 s2, s5, 0
	s_add_u32 s0, s0, s6
	s_addc_u32 s1, s2, s1
	s_load_dword s0, s[0:1], 0x740
	s_waitcnt vmcnt(0)
	v_readfirstlane_b32 s2, v1
	s_lshl_b32 s1, s2, 3
	s_load_dwordx2 s[2:3], s[4:5], s1 offset:0x0
	s_load_dwordx2 s[12:13], s[4:5], s1 offset:0x400
	;; [unrolled: 1-line block ×3, first 2 shown]
	s_waitcnt lgkmcnt(0)
	s_ashr_i32 s1, s0, 31
	s_lshl_b64 s[10:11], s[0:1], 16
	s_add_u32 s8, s2, s10
	s_addc_u32 s9, s3, s11
	s_add_u32 s20, s6, s10
	s_addc_u32 s18, s7, s11
	s_or_b64 s[0:1], s[12:13], s[8:9]
	s_or_b32 s0, s20, s0
	s_and_b32 s0, s0, 3
	s_sub_u32 s12, s12, s10
	s_subb_u32 s13, s13, s11
	s_cmp_eq_u32 s0, 0
	s_mov_b64 s[0:1], -1
	s_cbranch_scc0 .LBB69_5
; %bb.1:
	v_lshlrev_b32_e32 v2, 2, v0
	v_mov_b32_e32 v3, 0
	v_cmp_gt_i64_e32 vcc, s[12:13], v[2:3]
	s_and_saveexec_b64 s[14:15], vcc
	s_cbranch_execz .LBB69_4
; %bb.2:
	s_load_dword s0, s[4:5], 0xc6c
	s_mov_b32 s1, 0
	s_mov_b64 s[16:17], 0
	v_mov_b32_e32 v1, s9
	v_mov_b32_e32 v4, s18
	s_waitcnt lgkmcnt(0)
	s_and_b32 s0, s0, 0xffff
	s_lshl_b32 s9, s0, 2
	v_mov_b32_e32 v5, s1
	s_mov_b64 s[18:19], 0xffff
.LBB69_3:                               ; =>This Inner Loop Header: Depth=1
	v_add_co_u32_e32 v6, vcc, s8, v2
	v_addc_co_u32_e32 v7, vcc, v1, v3, vcc
	global_load_dword v8, v[6:7], off
	v_add_co_u32_e32 v6, vcc, s20, v2
	v_addc_co_u32_e32 v7, vcc, v4, v3, vcc
	v_add_co_u32_e32 v2, vcc, s9, v2
	v_addc_co_u32_e32 v3, vcc, v5, v3, vcc
	v_cmp_le_i64_e32 vcc, s[12:13], v[2:3]
	v_cmp_lt_u64_e64 s[0:1], s[18:19], v[2:3]
	s_or_b64 s[0:1], vcc, s[0:1]
	s_and_b64 s[0:1], exec, s[0:1]
	s_or_b64 s[16:17], s[0:1], s[16:17]
	s_waitcnt vmcnt(0)
	global_store_dword v[6:7], v8, off
	s_andn2_b64 exec, exec, s[16:17]
	s_cbranch_execnz .LBB69_3
.LBB69_4:
	s_or_b64 exec, exec, s[14:15]
	s_mov_b64 s[0:1], 0
.LBB69_5:
	s_andn2_b64 vcc, exec, s[0:1]
	s_cbranch_vccnz .LBB69_25
; %bb.6:
	v_cmp_lt_i64_e64 s[0:1], s[12:13], 1
	s_and_b64 vcc, exec, s[0:1]
	s_cbranch_vccnz .LBB69_25
; %bb.7:
	s_load_dword s0, s[4:5], 0xc6c
	v_mov_b32_e32 v2, 0x10000
	v_mov_b32_e32 v3, 0
	v_cmp_lt_u64_e32 vcc, s[12:13], v[2:3]
	v_mov_b32_e32 v1, s11
	s_waitcnt lgkmcnt(0)
	s_and_b32 s4, s0, 0xffff
	s_and_b64 s[0:1], vcc, exec
	v_add_co_u32_e32 v2, vcc, s10, v0
	v_addc_co_u32_e32 v3, vcc, 0, v1, vcc
	v_mov_b32_e32 v20, s3
	v_add_co_u32_e32 v1, vcc, s2, v2
	s_cselect_b32 s9, s13, 0
	s_cselect_b32 s8, s12, 0x10000
	s_lshl_b32 s5, s4, 1
	s_mul_i32 s0, s4, 3
	s_lshl_b32 s14, s4, 2
	v_addc_co_u32_e32 v4, vcc, v20, v3, vcc
	v_mov_b32_e32 v22, s7
	v_add_co_u32_e32 v5, vcc, s6, v2
	s_add_u32 s1, s10, s0
	v_addc_co_u32_e32 v6, vcc, v22, v3, vcc
	s_addc_u32 s3, s11, 0
	v_mov_b32_e32 v7, s3
	v_add_co_u32_e32 v9, vcc, s1, v0
	v_addc_co_u32_e32 v10, vcc, 0, v7, vcc
	v_add_co_u32_e32 v7, vcc, s2, v9
	v_addc_co_u32_e32 v8, vcc, v20, v10, vcc
	;; [unrolled: 2-line block ×3, first 2 shown]
	v_add_co_u32_e32 v11, vcc, s0, v0
	v_addc_co_u32_e64 v12, s[0:1], 0, 0, vcc
	s_add_u32 s0, s10, s5
	s_addc_u32 s1, s11, 0
	v_mov_b32_e32 v13, s1
	v_add_co_u32_e32 v15, vcc, s0, v0
	v_addc_co_u32_e32 v16, vcc, 0, v13, vcc
	v_add_co_u32_e32 v13, vcc, s2, v15
	v_addc_co_u32_e32 v14, vcc, v20, v16, vcc
	;; [unrolled: 2-line block ×3, first 2 shown]
	v_add_co_u32_e32 v17, vcc, s5, v0
	v_addc_co_u32_e64 v18, s[0:1], 0, 0, vcc
	v_add_co_u32_e32 v2, vcc, s4, v2
	v_addc_co_u32_e32 v3, vcc, 0, v3, vcc
	v_add_co_u32_e32 v19, vcc, s2, v2
	v_addc_co_u32_e32 v20, vcc, v20, v3, vcc
	;; [unrolled: 2-line block ×3, first 2 shown]
	v_add_co_u32_e32 v23, vcc, s4, v0
	v_addc_co_u32_e64 v24, s[0:1], 0, 0, vcc
	s_mov_b64 s[10:11], 0
	v_pk_mov_b32 v[2:3], s[12:13], s[12:13] op_sel:[0,1]
	s_branch .LBB69_9
.LBB69_8:                               ;   in Loop: Header=BB69_9 Depth=1
	s_or_b64 exec, exec, s[0:1]
	s_add_u32 s10, s10, s14
	s_waitcnt vmcnt(0)
	v_mov_b32_e32 v26, 0xffff
	s_addc_u32 s11, s11, 0
	v_mov_b32_e32 v27, 0
	v_cmp_ge_i64_e32 vcc, s[10:11], v[2:3]
	v_cmp_gt_u64_e64 s[0:1], s[10:11], v[26:27]
	s_or_b64 s[0:1], vcc, s[0:1]
	s_and_b64 vcc, exec, s[0:1]
	s_cbranch_vccnz .LBB69_25
.LBB69_9:                               ; =>This Inner Loop Header: Depth=1
	v_mov_b32_e32 v25, s11
	v_add_co_u32_e32 v26, vcc, s10, v0
	v_addc_co_u32_e32 v27, vcc, 0, v25, vcc
	v_cmp_gt_u64_e32 vcc, s[8:9], v[26:27]
	v_mov_b32_e32 v25, 0
	s_and_saveexec_b64 s[2:3], vcc
	s_cbranch_execz .LBB69_11
; %bb.10:                               ;   in Loop: Header=BB69_9 Depth=1
	v_mov_b32_e32 v25, s11
	v_add_co_u32_e64 v26, s[0:1], s10, v1
	v_addc_co_u32_e64 v27, s[0:1], v4, v25, s[0:1]
	global_load_ubyte v25, v[26:27], off
.LBB69_11:                              ;   in Loop: Header=BB69_9 Depth=1
	s_or_b64 exec, exec, s[2:3]
	v_mov_b32_e32 v27, s11
	v_add_co_u32_e64 v26, s[0:1], s10, v23
	v_addc_co_u32_e64 v27, s[0:1], v24, v27, s[0:1]
	v_cmp_gt_u64_e64 s[0:1], s[8:9], v[26:27]
	v_mov_b32_e32 v27, 0
	s_and_saveexec_b64 s[4:5], s[0:1]
	s_cbranch_execz .LBB69_13
; %bb.12:                               ;   in Loop: Header=BB69_9 Depth=1
	v_mov_b32_e32 v27, s11
	v_add_co_u32_e64 v26, s[2:3], s10, v19
	v_addc_co_u32_e64 v27, s[2:3], v20, v27, s[2:3]
	global_load_ubyte v27, v[26:27], off
.LBB69_13:                              ;   in Loop: Header=BB69_9 Depth=1
	s_or_b64 exec, exec, s[4:5]
	v_mov_b32_e32 v26, s11
	v_add_co_u32_e64 v28, s[2:3], s10, v17
	v_addc_co_u32_e64 v29, s[2:3], v18, v26, s[2:3]
	v_cmp_gt_u64_e64 s[2:3], s[8:9], v[28:29]
	v_mov_b32_e32 v26, 0
	v_mov_b32_e32 v28, 0
	s_and_saveexec_b64 s[6:7], s[2:3]
	s_cbranch_execz .LBB69_15
; %bb.14:                               ;   in Loop: Header=BB69_9 Depth=1
	v_mov_b32_e32 v29, s11
	v_add_co_u32_e64 v28, s[4:5], s10, v13
	v_addc_co_u32_e64 v29, s[4:5], v14, v29, s[4:5]
	global_load_ubyte v28, v[28:29], off
.LBB69_15:                              ;   in Loop: Header=BB69_9 Depth=1
	s_or_b64 exec, exec, s[6:7]
	v_mov_b32_e32 v29, s11
	v_add_co_u32_e64 v30, s[4:5], s10, v11
	v_addc_co_u32_e64 v31, s[4:5], v12, v29, s[4:5]
	v_cmp_gt_u64_e64 s[4:5], s[8:9], v[30:31]
	s_and_saveexec_b64 s[12:13], s[4:5]
	s_cbranch_execnz .LBB69_20
; %bb.16:                               ;   in Loop: Header=BB69_9 Depth=1
	s_or_b64 exec, exec, s[12:13]
	s_and_saveexec_b64 s[6:7], vcc
	s_cbranch_execnz .LBB69_21
.LBB69_17:                              ;   in Loop: Header=BB69_9 Depth=1
	s_or_b64 exec, exec, s[6:7]
	s_and_saveexec_b64 s[6:7], s[0:1]
	s_cbranch_execnz .LBB69_22
.LBB69_18:                              ;   in Loop: Header=BB69_9 Depth=1
	s_or_b64 exec, exec, s[6:7]
	s_and_saveexec_b64 s[0:1], s[2:3]
	s_cbranch_execnz .LBB69_23
.LBB69_19:                              ;   in Loop: Header=BB69_9 Depth=1
	s_or_b64 exec, exec, s[0:1]
	s_and_saveexec_b64 s[0:1], s[4:5]
	s_cbranch_execz .LBB69_8
	s_branch .LBB69_24
.LBB69_20:                              ;   in Loop: Header=BB69_9 Depth=1
	v_mov_b32_e32 v26, s11
	v_add_co_u32_e64 v30, s[6:7], s10, v7
	v_addc_co_u32_e64 v31, s[6:7], v8, v26, s[6:7]
	global_load_ubyte v26, v[30:31], off
	s_or_b64 exec, exec, s[12:13]
	s_and_saveexec_b64 s[6:7], vcc
	s_cbranch_execz .LBB69_17
.LBB69_21:                              ;   in Loop: Header=BB69_9 Depth=1
	v_mov_b32_e32 v29, s11
	v_add_co_u32_e32 v30, vcc, s10, v5
	v_addc_co_u32_e32 v31, vcc, v6, v29, vcc
	s_waitcnt vmcnt(0)
	global_store_byte v[30:31], v25, off
	s_or_b64 exec, exec, s[6:7]
	s_and_saveexec_b64 s[6:7], s[0:1]
	s_cbranch_execz .LBB69_18
.LBB69_22:                              ;   in Loop: Header=BB69_9 Depth=1
	s_waitcnt vmcnt(0)
	v_mov_b32_e32 v25, s11
	v_add_co_u32_e32 v30, vcc, s10, v21
	v_addc_co_u32_e32 v31, vcc, v22, v25, vcc
	global_store_byte v[30:31], v27, off
	s_or_b64 exec, exec, s[6:7]
	s_and_saveexec_b64 s[0:1], s[2:3]
	s_cbranch_execz .LBB69_19
.LBB69_23:                              ;   in Loop: Header=BB69_9 Depth=1
	s_waitcnt vmcnt(0)
	v_mov_b32_e32 v25, s11
	v_add_co_u32_e32 v30, vcc, s10, v15
	v_addc_co_u32_e32 v31, vcc, v16, v25, vcc
	global_store_byte v[30:31], v28, off
	s_or_b64 exec, exec, s[0:1]
	s_and_saveexec_b64 s[0:1], s[4:5]
	s_cbranch_execz .LBB69_8
.LBB69_24:                              ;   in Loop: Header=BB69_9 Depth=1
	s_waitcnt vmcnt(0)
	v_mov_b32_e32 v25, s11
	v_add_co_u32_e32 v28, vcc, s10, v9
	v_addc_co_u32_e32 v29, vcc, v10, v25, vcc
	global_store_byte v[28:29], v26, off
	s_branch .LBB69_8
.LBB69_25:
	s_endpgm
	.section	.rodata,"a",@progbits
	.p2align	6, 0x0
	.amdhsa_kernel _ZN2at6native12_GLOBAL__N_125multi_tensor_apply_kernelINS1_18TensorListMetadataILi2EEENS1_27BinaryOpScalarTensorFunctorIbLi2ELi1ELi1EEEJSt7dividesIbEPbbEEEvT_T0_DpT1_
		.amdhsa_group_segment_fixed_size 0
		.amdhsa_private_segment_fixed_size 0
		.amdhsa_kernarg_size 3424
		.amdhsa_user_sgpr_count 6
		.amdhsa_user_sgpr_private_segment_buffer 1
		.amdhsa_user_sgpr_dispatch_ptr 0
		.amdhsa_user_sgpr_queue_ptr 0
		.amdhsa_user_sgpr_kernarg_segment_ptr 1
		.amdhsa_user_sgpr_dispatch_id 0
		.amdhsa_user_sgpr_flat_scratch_init 0
		.amdhsa_user_sgpr_kernarg_preload_length 0
		.amdhsa_user_sgpr_kernarg_preload_offset 0
		.amdhsa_user_sgpr_private_segment_size 0
		.amdhsa_uses_dynamic_stack 0
		.amdhsa_system_sgpr_private_segment_wavefront_offset 0
		.amdhsa_system_sgpr_workgroup_id_x 1
		.amdhsa_system_sgpr_workgroup_id_y 0
		.amdhsa_system_sgpr_workgroup_id_z 0
		.amdhsa_system_sgpr_workgroup_info 0
		.amdhsa_system_vgpr_workitem_id 0
		.amdhsa_next_free_vgpr 32
		.amdhsa_next_free_sgpr 21
		.amdhsa_accum_offset 32
		.amdhsa_reserve_vcc 1
		.amdhsa_reserve_flat_scratch 0
		.amdhsa_float_round_mode_32 0
		.amdhsa_float_round_mode_16_64 0
		.amdhsa_float_denorm_mode_32 3
		.amdhsa_float_denorm_mode_16_64 3
		.amdhsa_dx10_clamp 1
		.amdhsa_ieee_mode 1
		.amdhsa_fp16_overflow 0
		.amdhsa_tg_split 0
		.amdhsa_exception_fp_ieee_invalid_op 0
		.amdhsa_exception_fp_denorm_src 0
		.amdhsa_exception_fp_ieee_div_zero 0
		.amdhsa_exception_fp_ieee_overflow 0
		.amdhsa_exception_fp_ieee_underflow 0
		.amdhsa_exception_fp_ieee_inexact 0
		.amdhsa_exception_int_div_zero 0
	.end_amdhsa_kernel
	.section	.text._ZN2at6native12_GLOBAL__N_125multi_tensor_apply_kernelINS1_18TensorListMetadataILi2EEENS1_27BinaryOpScalarTensorFunctorIbLi2ELi1ELi1EEEJSt7dividesIbEPbbEEEvT_T0_DpT1_,"axG",@progbits,_ZN2at6native12_GLOBAL__N_125multi_tensor_apply_kernelINS1_18TensorListMetadataILi2EEENS1_27BinaryOpScalarTensorFunctorIbLi2ELi1ELi1EEEJSt7dividesIbEPbbEEEvT_T0_DpT1_,comdat
.Lfunc_end69:
	.size	_ZN2at6native12_GLOBAL__N_125multi_tensor_apply_kernelINS1_18TensorListMetadataILi2EEENS1_27BinaryOpScalarTensorFunctorIbLi2ELi1ELi1EEEJSt7dividesIbEPbbEEEvT_T0_DpT1_, .Lfunc_end69-_ZN2at6native12_GLOBAL__N_125multi_tensor_apply_kernelINS1_18TensorListMetadataILi2EEENS1_27BinaryOpScalarTensorFunctorIbLi2ELi1ELi1EEEJSt7dividesIbEPbbEEEvT_T0_DpT1_
                                        ; -- End function
	.section	.AMDGPU.csdata,"",@progbits
; Kernel info:
; codeLenInByte = 1096
; NumSgprs: 25
; NumVgprs: 32
; NumAgprs: 0
; TotalNumVgprs: 32
; ScratchSize: 0
; MemoryBound: 0
; FloatMode: 240
; IeeeMode: 1
; LDSByteSize: 0 bytes/workgroup (compile time only)
; SGPRBlocks: 3
; VGPRBlocks: 3
; NumSGPRsForWavesPerEU: 25
; NumVGPRsForWavesPerEU: 32
; AccumOffset: 32
; Occupancy: 8
; WaveLimiterHint : 0
; COMPUTE_PGM_RSRC2:SCRATCH_EN: 0
; COMPUTE_PGM_RSRC2:USER_SGPR: 6
; COMPUTE_PGM_RSRC2:TRAP_HANDLER: 0
; COMPUTE_PGM_RSRC2:TGID_X_EN: 1
; COMPUTE_PGM_RSRC2:TGID_Y_EN: 0
; COMPUTE_PGM_RSRC2:TGID_Z_EN: 0
; COMPUTE_PGM_RSRC2:TIDIG_COMP_CNT: 0
; COMPUTE_PGM_RSRC3_GFX90A:ACCUM_OFFSET: 7
; COMPUTE_PGM_RSRC3_GFX90A:TG_SPLIT: 0
	.section	.text._ZN2at6native12_GLOBAL__N_125multi_tensor_apply_kernelINS1_18TensorListMetadataILi2EEENS1_27BinaryOpScalarTensorFunctorIN3c104HalfELi2ELi1ELi1EEEJSt7dividesIfEPS7_fEEEvT_T0_DpT1_,"axG",@progbits,_ZN2at6native12_GLOBAL__N_125multi_tensor_apply_kernelINS1_18TensorListMetadataILi2EEENS1_27BinaryOpScalarTensorFunctorIN3c104HalfELi2ELi1ELi1EEEJSt7dividesIfEPS7_fEEEvT_T0_DpT1_,comdat
	.globl	_ZN2at6native12_GLOBAL__N_125multi_tensor_apply_kernelINS1_18TensorListMetadataILi2EEENS1_27BinaryOpScalarTensorFunctorIN3c104HalfELi2ELi1ELi1EEEJSt7dividesIfEPS7_fEEEvT_T0_DpT1_ ; -- Begin function _ZN2at6native12_GLOBAL__N_125multi_tensor_apply_kernelINS1_18TensorListMetadataILi2EEENS1_27BinaryOpScalarTensorFunctorIN3c104HalfELi2ELi1ELi1EEEJSt7dividesIfEPS7_fEEEvT_T0_DpT1_
	.p2align	8
	.type	_ZN2at6native12_GLOBAL__N_125multi_tensor_apply_kernelINS1_18TensorListMetadataILi2EEENS1_27BinaryOpScalarTensorFunctorIN3c104HalfELi2ELi1ELi1EEEJSt7dividesIfEPS7_fEEEvT_T0_DpT1_,@function
_ZN2at6native12_GLOBAL__N_125multi_tensor_apply_kernelINS1_18TensorListMetadataILi2EEENS1_27BinaryOpScalarTensorFunctorIN3c104HalfELi2ELi1ELi1EEEJSt7dividesIfEPS7_fEEEvT_T0_DpT1_: ; @_ZN2at6native12_GLOBAL__N_125multi_tensor_apply_kernelINS1_18TensorListMetadataILi2EEENS1_27BinaryOpScalarTensorFunctorIN3c104HalfELi2ELi1ELi1EEEJSt7dividesIfEPS7_fEEEvT_T0_DpT1_
; %bb.0:
	v_mov_b32_e32 v1, s6
	global_load_ubyte v1, v1, s[4:5] offset:1536
	s_add_u32 s0, s4, s6
	s_mul_hi_u32 s1, s6, 3
	s_mul_i32 s6, s6, 3
	s_addc_u32 s2, s5, 0
	s_add_u32 s0, s0, s6
	s_addc_u32 s1, s2, s1
	s_load_dword s2, s[0:1], 0x740
	s_load_dword s24, s[4:5], 0xc58
	s_mov_b32 s1, 0
	s_mov_b32 s13, s1
	;; [unrolled: 1-line block ×3, first 2 shown]
	s_waitcnt lgkmcnt(0)
	s_ashr_i32 s3, s2, 31
	s_lshl_b64 s[10:11], s[2:3], 17
	s_waitcnt vmcnt(0)
	v_readfirstlane_b32 s0, v1
	s_lshl_b32 s0, s0, 3
	s_load_dwordx2 s[18:19], s[4:5], s0 offset:0x0
	s_load_dwordx2 s[8:9], s[4:5], 0xc50
	s_load_dwordx2 s[14:15], s[4:5], s0 offset:0x400
	s_load_dwordx2 s[16:17], s[4:5], s0 offset:0x200
	s_waitcnt lgkmcnt(0)
	s_add_u32 s25, s18, s10
	s_addc_u32 s26, s19, s11
	s_and_b32 s0, s25, 7
	s_add_u32 s27, s16, s10
	s_addc_u32 s28, s17, s11
	s_and_b32 s12, s14, 3
	s_and_b32 s6, s27, 7
	s_or_b64 s[12:13], s[0:1], s[12:13]
	s_or_b64 s[6:7], s[6:7], s[12:13]
	s_lshl_b64 s[2:3], s[2:3], 16
	s_sub_u32 s12, s14, s2
	s_subb_u32 s13, s15, s3
	s_cmp_eq_u64 s[6:7], 0
	s_mov_b64 s[2:3], -1
	s_cbranch_scc0 .LBB70_5
; %bb.1:
	v_mov_b32_e32 v3, 0
	v_lshlrev_b32_e32 v2, 2, v0
	v_cmp_gt_i64_e32 vcc, s[12:13], v[2:3]
	s_and_saveexec_b64 s[14:15], vcc
	s_cbranch_execz .LBB70_4
; %bb.2:
	s_load_dword s0, s[4:5], 0xc6c
	v_lshlrev_b32_e32 v4, 3, v0
	s_mov_b64 s[20:21], 0
	s_mov_b64 s[22:23], 0xffff
	v_mov_b32_e32 v1, s1
	s_waitcnt lgkmcnt(0)
	s_and_b32 s0, s0, 0xffff
	v_add_lshl_u32 v2, v0, s0, 2
	s_lshl_b32 s29, s0, 2
	s_lshl_b32 s30, s0, 3
	v_pk_mov_b32 v[6:7], v[2:3], v[2:3] op_sel:[0,1]
.LBB70_3:                               ; =>This Inner Loop Header: Depth=1
	v_mov_b32_e32 v2, s26
	v_add_co_u32_e32 v8, vcc, s25, v4
	global_load_ushort v5, v3, s[8:9]
	v_addc_co_u32_e32 v9, vcc, 0, v2, vcc
	global_load_dwordx2 v[8:9], v[8:9], off
	v_cmp_le_i64_e32 vcc, s[12:13], v[6:7]
	v_cmp_lt_u64_e64 s[0:1], s[22:23], v[6:7]
	v_add_co_u32_e64 v6, s[2:3], s29, v6
	v_addc_co_u32_e64 v7, s[2:3], v7, v1, s[2:3]
	v_mov_b32_e32 v2, s28
	v_add_co_u32_e64 v10, s[2:3], s27, v4
	v_addc_co_u32_e64 v11, s[2:3], 0, v2, s[2:3]
	s_or_b64 s[34:35], vcc, s[0:1]
	s_add_u32 s25, s25, s30
	s_addc_u32 s26, s26, 0
	s_add_u32 s27, s27, s30
	s_addc_u32 s28, s28, 0
	s_waitcnt vmcnt(1)
	v_cvt_f32_f16_e32 v2, v5
	s_waitcnt vmcnt(0)
	v_cvt_f32_f16_e32 v5, v8
	v_cvt_f32_f16_sdwa v8, v8 dst_sel:DWORD dst_unused:UNUSED_PAD src0_sel:WORD_1
	v_cvt_f32_f16_e32 v12, v9
	v_cvt_f32_f16_sdwa v9, v9 dst_sel:DWORD dst_unused:UNUSED_PAD src0_sel:WORD_1
	v_mul_f32_e32 v2, s24, v2
	v_div_scale_f32 v13, s[0:1], v2, v2, v5
	v_div_scale_f32 v15, s[0:1], v2, v2, v8
	v_rcp_f32_e32 v21, v13
	v_div_scale_f32 v17, s[2:3], v2, v2, v12
	v_rcp_f32_e32 v22, v15
	;; [unrolled: 2-line block ×3, first 2 shown]
	v_rcp_f32_e32 v24, v19
	v_fma_f32 v25, -v13, v21, 1.0
	v_div_scale_f32 v14, vcc, v5, v2, v5
	v_fma_f32 v26, -v15, v22, 1.0
	v_fmac_f32_e32 v21, v25, v21
	v_div_scale_f32 v16, s[0:1], v8, v2, v8
	v_fma_f32 v27, -v17, v23, 1.0
	v_fmac_f32_e32 v22, v26, v22
	v_mul_f32_e32 v25, v14, v21
	v_div_scale_f32 v18, s[2:3], v12, v2, v12
	v_fma_f32 v28, -v19, v24, 1.0
	v_fmac_f32_e32 v23, v27, v23
	v_mul_f32_e32 v26, v16, v22
	v_fma_f32 v29, -v13, v25, v14
	v_div_scale_f32 v20, s[6:7], v9, v2, v9
	v_fmac_f32_e32 v24, v28, v24
	v_mul_f32_e32 v27, v18, v23
	v_fma_f32 v30, -v15, v26, v16
	v_fmac_f32_e32 v25, v29, v21
	v_mul_f32_e32 v28, v20, v24
	v_fma_f32 v31, -v17, v27, v18
	v_fmac_f32_e32 v26, v30, v22
	v_fma_f32 v13, -v13, v25, v14
	v_fma_f32 v32, -v19, v28, v20
	v_fmac_f32_e32 v27, v31, v23
	v_fma_f32 v14, -v15, v26, v16
	v_div_fmas_f32 v13, v13, v21, v25
	s_mov_b64 vcc, s[0:1]
	v_fmac_f32_e32 v28, v32, v24
	v_fma_f32 v15, -v17, v27, v18
	v_div_fixup_f32 v5, v13, v2, v5
	v_div_fmas_f32 v13, v14, v22, v26
	s_mov_b64 vcc, s[2:3]
	v_fma_f32 v16, -v19, v28, v20
	v_div_fixup_f32 v8, v13, v2, v8
	v_div_fmas_f32 v13, v15, v23, v27
	s_mov_b64 vcc, s[6:7]
	v_div_fixup_f32 v12, v13, v2, v12
	v_div_fmas_f32 v13, v16, v24, v28
	v_div_fixup_f32 v2, v13, v2, v9
	v_cvt_f16_f32_e32 v5, v5
	v_cvt_f16_f32_e32 v8, v8
	;; [unrolled: 1-line block ×4, first 2 shown]
	s_and_b64 s[0:1], exec, s[34:35]
	s_or_b64 s[20:21], s[0:1], s[20:21]
	v_pack_b32_f16 v8, v5, v8
	v_pack_b32_f16 v9, v12, v2
	global_store_dwordx2 v[10:11], v[8:9], off
	s_andn2_b64 exec, exec, s[20:21]
	s_cbranch_execnz .LBB70_3
.LBB70_4:
	s_or_b64 exec, exec, s[14:15]
	s_mov_b64 s[2:3], 0
.LBB70_5:
	s_andn2_b64 vcc, exec, s[2:3]
	s_cbranch_vccnz .LBB70_25
; %bb.6:
	v_cmp_lt_i64_e64 s[0:1], s[12:13], 1
	s_and_b64 vcc, exec, s[0:1]
	s_cbranch_vccnz .LBB70_25
; %bb.7:
	s_load_dword s0, s[4:5], 0xc6c
	v_mov_b32_e32 v4, 0x10000
	v_mov_b32_e32 v5, 0
	v_cmp_lt_u64_e32 vcc, s[12:13], v[4:5]
	v_lshlrev_b32_e32 v2, 1, v0
	s_waitcnt lgkmcnt(0)
	s_and_b32 s2, s0, 0xffff
	s_and_b64 s[0:1], vcc, exec
	v_mov_b32_e32 v15, s19
	v_add_co_u32_e32 v4, vcc, s18, v2
	v_addc_co_u32_e32 v1, vcc, 0, v15, vcc
	v_mov_b32_e32 v3, 0
	v_mov_b32_e32 v17, s17
	v_add_co_u32_e32 v6, vcc, s16, v2
	v_addc_co_u32_e32 v5, vcc, 0, v17, vcc
	v_mad_u64_u32 v[10:11], s[0:1], s2, 6, v[2:3]
	v_add_co_u32_e32 v8, vcc, s18, v10
	v_addc_co_u32_e32 v7, vcc, v15, v11, vcc
	v_add_co_u32_e32 v10, vcc, s16, v10
	s_mul_i32 s4, s2, 3
	v_addc_co_u32_e32 v9, vcc, v17, v11, vcc
	s_cselect_b32 s15, s13, 0
	s_cselect_b32 s14, s12, 0x10000
	s_lshl_b32 s21, s2, 2
	v_add_co_u32_e32 v18, vcc, s4, v0
	v_addc_co_u32_e64 v19, s[0:1], 0, 0, vcc
	v_add_co_u32_e32 v12, vcc, s21, v2
	v_addc_co_u32_e64 v13, s[0:1], 0, 0, vcc
	v_add_co_u32_e32 v2, vcc, s18, v12
	v_addc_co_u32_e32 v11, vcc, v15, v13, vcc
	v_add_co_u32_e32 v12, vcc, s16, v12
	s_lshl_b32 s3, s2, 1
	v_addc_co_u32_e32 v13, vcc, v17, v13, vcc
	v_add_co_u32_e32 v20, vcc, s3, v0
	v_addc_co_u32_e64 v21, s[0:1], 0, 0, vcc
	v_add_co_u32_e32 v22, vcc, s2, v0
	v_lshlrev_b32_e32 v16, 1, v22
	v_addc_co_u32_e64 v23, s[0:1], 0, 0, vcc
	v_add_co_u32_e32 v14, vcc, s18, v16
	v_addc_co_u32_e32 v15, vcc, 0, v15, vcc
	v_add_co_u32_e32 v16, vcc, s16, v16
	s_mov_b32 s20, 0
	s_lshl_b32 s22, s2, 3
	v_addc_co_u32_e32 v17, vcc, 0, v17, vcc
	s_mov_b64 s[16:17], 0
	s_branch .LBB70_9
.LBB70_8:                               ;   in Loop: Header=BB70_9 Depth=1
	s_or_b64 exec, exec, s[2:3]
	s_add_u32 s16, s16, s21
	s_addc_u32 s17, s17, 0
	v_pk_mov_b32 v[24:25], s[12:13], s[12:13] op_sel:[0,1]
	v_cmp_ge_i64_e32 vcc, s[16:17], v[24:25]
	v_mov_b32_e32 v24, 0xffff
	v_mov_b32_e32 v25, 0
	v_cmp_gt_u64_e64 s[0:1], s[16:17], v[24:25]
	s_or_b64 s[0:1], vcc, s[0:1]
	v_mov_b32_e32 v24, s20
	v_add_co_u32_e32 v4, vcc, s22, v4
	v_addc_co_u32_e32 v1, vcc, v1, v24, vcc
	v_add_co_u32_e32 v6, vcc, s22, v6
	v_addc_co_u32_e32 v5, vcc, v5, v24, vcc
	;; [unrolled: 2-line block ×8, first 2 shown]
	s_and_b64 vcc, exec, s[0:1]
	s_cbranch_vccnz .LBB70_25
.LBB70_9:                               ; =>This Inner Loop Header: Depth=1
	v_mov_b32_e32 v25, s17
	v_add_co_u32_e32 v24, vcc, s16, v0
	v_addc_co_u32_e32 v25, vcc, 0, v25, vcc
	v_cmp_gt_u64_e32 vcc, s[14:15], v[24:25]
	v_mov_b32_e32 v28, 0
	s_and_saveexec_b64 s[2:3], vcc
	s_cbranch_execz .LBB70_11
; %bb.10:                               ;   in Loop: Header=BB70_9 Depth=1
	v_mov_b32_e32 v25, s11
	v_add_co_u32_e64 v24, s[0:1], s10, v4
	v_addc_co_u32_e64 v25, s[0:1], v1, v25, s[0:1]
	global_load_ushort v28, v[24:25], off
.LBB70_11:                              ;   in Loop: Header=BB70_9 Depth=1
	s_or_b64 exec, exec, s[2:3]
	v_mov_b32_e32 v25, s17
	v_add_co_u32_e64 v24, s[0:1], s16, v22
	v_addc_co_u32_e64 v25, s[0:1], v23, v25, s[0:1]
	v_cmp_gt_u64_e64 s[4:5], s[14:15], v[24:25]
	v_mov_b32_e32 v25, 0
	v_mov_b32_e32 v27, 0
	s_and_saveexec_b64 s[2:3], s[4:5]
	s_cbranch_execz .LBB70_13
; %bb.12:                               ;   in Loop: Header=BB70_9 Depth=1
	v_mov_b32_e32 v24, s11
	v_add_co_u32_e64 v26, s[0:1], s10, v14
	v_addc_co_u32_e64 v27, s[0:1], v15, v24, s[0:1]
	global_load_ushort v27, v[26:27], off
.LBB70_13:                              ;   in Loop: Header=BB70_9 Depth=1
	s_or_b64 exec, exec, s[2:3]
	v_mov_b32_e32 v24, s17
	v_add_co_u32_e64 v30, s[0:1], s16, v20
	v_addc_co_u32_e64 v31, s[0:1], v21, v24, s[0:1]
	v_cmp_gt_u64_e64 s[2:3], s[14:15], v[30:31]
	s_and_saveexec_b64 s[6:7], s[2:3]
	s_cbranch_execz .LBB70_15
; %bb.14:                               ;   in Loop: Header=BB70_9 Depth=1
	v_mov_b32_e32 v25, s11
	v_add_co_u32_e64 v24, s[0:1], s10, v2
	v_addc_co_u32_e64 v25, s[0:1], v11, v25, s[0:1]
	global_load_ushort v25, v[24:25], off
.LBB70_15:                              ;   in Loop: Header=BB70_9 Depth=1
	s_or_b64 exec, exec, s[6:7]
	v_mov_b32_e32 v24, s17
	v_add_co_u32_e64 v30, s[0:1], s16, v18
	v_addc_co_u32_e64 v31, s[0:1], v19, v24, s[0:1]
	v_cmp_gt_u64_e64 s[0:1], s[14:15], v[30:31]
	v_mov_b32_e32 v26, 0
	s_and_saveexec_b64 s[18:19], s[0:1]
	s_cbranch_execz .LBB70_17
; %bb.16:                               ;   in Loop: Header=BB70_9 Depth=1
	v_mov_b32_e32 v24, s11
	v_add_co_u32_e64 v30, s[6:7], s10, v8
	v_addc_co_u32_e64 v31, s[6:7], v7, v24, s[6:7]
	global_load_ushort v26, v[30:31], off
.LBB70_17:                              ;   in Loop: Header=BB70_9 Depth=1
	s_or_b64 exec, exec, s[18:19]
	global_load_ushort v24, v3, s[8:9]
	s_waitcnt vmcnt(0)
	v_cvt_f32_f16_e32 v24, v24
	v_mul_f32_e32 v24, s24, v24
	s_and_saveexec_b64 s[6:7], vcc
	s_cbranch_execnz .LBB70_21
; %bb.18:                               ;   in Loop: Header=BB70_9 Depth=1
	s_or_b64 exec, exec, s[6:7]
	s_and_saveexec_b64 s[6:7], s[4:5]
	s_cbranch_execnz .LBB70_22
.LBB70_19:                              ;   in Loop: Header=BB70_9 Depth=1
	s_or_b64 exec, exec, s[6:7]
	s_and_saveexec_b64 s[4:5], s[2:3]
	s_cbranch_execnz .LBB70_23
.LBB70_20:                              ;   in Loop: Header=BB70_9 Depth=1
	s_or_b64 exec, exec, s[4:5]
	s_and_saveexec_b64 s[2:3], s[0:1]
	s_cbranch_execz .LBB70_8
	s_branch .LBB70_24
.LBB70_21:                              ;   in Loop: Header=BB70_9 Depth=1
	v_cvt_f32_f16_e32 v28, v28
	v_mov_b32_e32 v31, s11
	v_div_scale_f32 v29, s[18:19], v24, v24, v28
	v_rcp_f32_e32 v30, v29
	v_div_scale_f32 v32, vcc, v28, v24, v28
	v_fma_f32 v33, -v29, v30, 1.0
	v_fmac_f32_e32 v30, v33, v30
	v_mul_f32_e32 v33, v32, v30
	v_fma_f32 v34, -v29, v33, v32
	v_fmac_f32_e32 v33, v34, v30
	v_fma_f32 v29, -v29, v33, v32
	v_div_fmas_f32 v29, v29, v30, v33
	v_div_fixup_f32 v28, v29, v24, v28
	v_cvt_f16_f32_e32 v30, v28
	v_add_co_u32_e32 v28, vcc, s10, v6
	v_addc_co_u32_e32 v29, vcc, v5, v31, vcc
	global_store_short v[28:29], v30, off
	s_or_b64 exec, exec, s[6:7]
	s_and_saveexec_b64 s[6:7], s[4:5]
	s_cbranch_execz .LBB70_19
.LBB70_22:                              ;   in Loop: Header=BB70_9 Depth=1
	v_cvt_f32_f16_e32 v27, v27
	v_mov_b32_e32 v30, s11
	v_div_scale_f32 v28, s[4:5], v24, v24, v27
	v_rcp_f32_e32 v29, v28
	v_div_scale_f32 v31, vcc, v27, v24, v27
	v_fma_f32 v32, -v28, v29, 1.0
	v_fmac_f32_e32 v29, v32, v29
	v_mul_f32_e32 v32, v31, v29
	v_fma_f32 v33, -v28, v32, v31
	v_fmac_f32_e32 v32, v33, v29
	v_fma_f32 v28, -v28, v32, v31
	v_div_fmas_f32 v28, v28, v29, v32
	v_div_fixup_f32 v27, v28, v24, v27
	v_cvt_f16_f32_e32 v27, v27
	v_add_co_u32_e32 v28, vcc, s10, v16
	v_addc_co_u32_e32 v29, vcc, v17, v30, vcc
	global_store_short v[28:29], v27, off
	s_or_b64 exec, exec, s[6:7]
	s_and_saveexec_b64 s[4:5], s[2:3]
	s_cbranch_execz .LBB70_20
.LBB70_23:                              ;   in Loop: Header=BB70_9 Depth=1
	v_cvt_f32_f16_e32 v25, v25
	v_mov_b32_e32 v29, s11
	v_div_scale_f32 v27, s[2:3], v24, v24, v25
	v_rcp_f32_e32 v28, v27
	v_div_scale_f32 v30, vcc, v25, v24, v25
	v_fma_f32 v31, -v27, v28, 1.0
	v_fmac_f32_e32 v28, v31, v28
	v_mul_f32_e32 v31, v30, v28
	v_fma_f32 v32, -v27, v31, v30
	v_fmac_f32_e32 v31, v32, v28
	v_fma_f32 v27, -v27, v31, v30
	v_div_fmas_f32 v27, v27, v28, v31
	v_div_fixup_f32 v25, v27, v24, v25
	v_cvt_f16_f32_e32 v25, v25
	v_add_co_u32_e32 v28, vcc, s10, v12
	v_addc_co_u32_e32 v29, vcc, v13, v29, vcc
	global_store_short v[28:29], v25, off
	s_or_b64 exec, exec, s[4:5]
	s_and_saveexec_b64 s[2:3], s[0:1]
	s_cbranch_execz .LBB70_8
.LBB70_24:                              ;   in Loop: Header=BB70_9 Depth=1
	v_cvt_f32_f16_e32 v25, v26
	v_mov_b32_e32 v28, s11
	v_div_scale_f32 v26, s[0:1], v24, v24, v25
	v_rcp_f32_e32 v27, v26
	v_div_scale_f32 v29, vcc, v25, v24, v25
	v_fma_f32 v30, -v26, v27, 1.0
	v_fmac_f32_e32 v27, v30, v27
	v_mul_f32_e32 v30, v29, v27
	v_fma_f32 v31, -v26, v30, v29
	v_fmac_f32_e32 v30, v31, v27
	v_fma_f32 v26, -v26, v30, v29
	v_div_fmas_f32 v26, v26, v27, v30
	v_div_fixup_f32 v24, v26, v24, v25
	v_cvt_f16_f32_e32 v26, v24
	v_add_co_u32_e32 v24, vcc, s10, v10
	v_addc_co_u32_e32 v25, vcc, v9, v28, vcc
	global_store_short v[24:25], v26, off
	s_branch .LBB70_8
.LBB70_25:
	s_endpgm
	.section	.rodata,"a",@progbits
	.p2align	6, 0x0
	.amdhsa_kernel _ZN2at6native12_GLOBAL__N_125multi_tensor_apply_kernelINS1_18TensorListMetadataILi2EEENS1_27BinaryOpScalarTensorFunctorIN3c104HalfELi2ELi1ELi1EEEJSt7dividesIfEPS7_fEEEvT_T0_DpT1_
		.amdhsa_group_segment_fixed_size 0
		.amdhsa_private_segment_fixed_size 0
		.amdhsa_kernarg_size 3424
		.amdhsa_user_sgpr_count 6
		.amdhsa_user_sgpr_private_segment_buffer 1
		.amdhsa_user_sgpr_dispatch_ptr 0
		.amdhsa_user_sgpr_queue_ptr 0
		.amdhsa_user_sgpr_kernarg_segment_ptr 1
		.amdhsa_user_sgpr_dispatch_id 0
		.amdhsa_user_sgpr_flat_scratch_init 0
		.amdhsa_user_sgpr_kernarg_preload_length 0
		.amdhsa_user_sgpr_kernarg_preload_offset 0
		.amdhsa_user_sgpr_private_segment_size 0
		.amdhsa_uses_dynamic_stack 0
		.amdhsa_system_sgpr_private_segment_wavefront_offset 0
		.amdhsa_system_sgpr_workgroup_id_x 1
		.amdhsa_system_sgpr_workgroup_id_y 0
		.amdhsa_system_sgpr_workgroup_id_z 0
		.amdhsa_system_sgpr_workgroup_info 0
		.amdhsa_system_vgpr_workitem_id 0
		.amdhsa_next_free_vgpr 35
		.amdhsa_next_free_sgpr 36
		.amdhsa_accum_offset 36
		.amdhsa_reserve_vcc 1
		.amdhsa_reserve_flat_scratch 0
		.amdhsa_float_round_mode_32 0
		.amdhsa_float_round_mode_16_64 0
		.amdhsa_float_denorm_mode_32 3
		.amdhsa_float_denorm_mode_16_64 3
		.amdhsa_dx10_clamp 1
		.amdhsa_ieee_mode 1
		.amdhsa_fp16_overflow 0
		.amdhsa_tg_split 0
		.amdhsa_exception_fp_ieee_invalid_op 0
		.amdhsa_exception_fp_denorm_src 0
		.amdhsa_exception_fp_ieee_div_zero 0
		.amdhsa_exception_fp_ieee_overflow 0
		.amdhsa_exception_fp_ieee_underflow 0
		.amdhsa_exception_fp_ieee_inexact 0
		.amdhsa_exception_int_div_zero 0
	.end_amdhsa_kernel
	.section	.text._ZN2at6native12_GLOBAL__N_125multi_tensor_apply_kernelINS1_18TensorListMetadataILi2EEENS1_27BinaryOpScalarTensorFunctorIN3c104HalfELi2ELi1ELi1EEEJSt7dividesIfEPS7_fEEEvT_T0_DpT1_,"axG",@progbits,_ZN2at6native12_GLOBAL__N_125multi_tensor_apply_kernelINS1_18TensorListMetadataILi2EEENS1_27BinaryOpScalarTensorFunctorIN3c104HalfELi2ELi1ELi1EEEJSt7dividesIfEPS7_fEEEvT_T0_DpT1_,comdat
.Lfunc_end70:
	.size	_ZN2at6native12_GLOBAL__N_125multi_tensor_apply_kernelINS1_18TensorListMetadataILi2EEENS1_27BinaryOpScalarTensorFunctorIN3c104HalfELi2ELi1ELi1EEEJSt7dividesIfEPS7_fEEEvT_T0_DpT1_, .Lfunc_end70-_ZN2at6native12_GLOBAL__N_125multi_tensor_apply_kernelINS1_18TensorListMetadataILi2EEENS1_27BinaryOpScalarTensorFunctorIN3c104HalfELi2ELi1ELi1EEEJSt7dividesIfEPS7_fEEEvT_T0_DpT1_
                                        ; -- End function
	.section	.AMDGPU.csdata,"",@progbits
; Kernel info:
; codeLenInByte = 1924
; NumSgprs: 40
; NumVgprs: 35
; NumAgprs: 0
; TotalNumVgprs: 35
; ScratchSize: 0
; MemoryBound: 0
; FloatMode: 240
; IeeeMode: 1
; LDSByteSize: 0 bytes/workgroup (compile time only)
; SGPRBlocks: 4
; VGPRBlocks: 4
; NumSGPRsForWavesPerEU: 40
; NumVGPRsForWavesPerEU: 35
; AccumOffset: 36
; Occupancy: 8
; WaveLimiterHint : 0
; COMPUTE_PGM_RSRC2:SCRATCH_EN: 0
; COMPUTE_PGM_RSRC2:USER_SGPR: 6
; COMPUTE_PGM_RSRC2:TRAP_HANDLER: 0
; COMPUTE_PGM_RSRC2:TGID_X_EN: 1
; COMPUTE_PGM_RSRC2:TGID_Y_EN: 0
; COMPUTE_PGM_RSRC2:TGID_Z_EN: 0
; COMPUTE_PGM_RSRC2:TIDIG_COMP_CNT: 0
; COMPUTE_PGM_RSRC3_GFX90A:ACCUM_OFFSET: 8
; COMPUTE_PGM_RSRC3_GFX90A:TG_SPLIT: 0
	.section	.text._ZN2at6native12_GLOBAL__N_125multi_tensor_apply_kernelINS1_18TensorListMetadataILi2EEENS1_27BinaryOpScalarTensorFunctorIN3c108BFloat16ELi2ELi1ELi1EEEJSt7dividesIfEPS7_fEEEvT_T0_DpT1_,"axG",@progbits,_ZN2at6native12_GLOBAL__N_125multi_tensor_apply_kernelINS1_18TensorListMetadataILi2EEENS1_27BinaryOpScalarTensorFunctorIN3c108BFloat16ELi2ELi1ELi1EEEJSt7dividesIfEPS7_fEEEvT_T0_DpT1_,comdat
	.globl	_ZN2at6native12_GLOBAL__N_125multi_tensor_apply_kernelINS1_18TensorListMetadataILi2EEENS1_27BinaryOpScalarTensorFunctorIN3c108BFloat16ELi2ELi1ELi1EEEJSt7dividesIfEPS7_fEEEvT_T0_DpT1_ ; -- Begin function _ZN2at6native12_GLOBAL__N_125multi_tensor_apply_kernelINS1_18TensorListMetadataILi2EEENS1_27BinaryOpScalarTensorFunctorIN3c108BFloat16ELi2ELi1ELi1EEEJSt7dividesIfEPS7_fEEEvT_T0_DpT1_
	.p2align	8
	.type	_ZN2at6native12_GLOBAL__N_125multi_tensor_apply_kernelINS1_18TensorListMetadataILi2EEENS1_27BinaryOpScalarTensorFunctorIN3c108BFloat16ELi2ELi1ELi1EEEJSt7dividesIfEPS7_fEEEvT_T0_DpT1_,@function
_ZN2at6native12_GLOBAL__N_125multi_tensor_apply_kernelINS1_18TensorListMetadataILi2EEENS1_27BinaryOpScalarTensorFunctorIN3c108BFloat16ELi2ELi1ELi1EEEJSt7dividesIfEPS7_fEEEvT_T0_DpT1_: ; @_ZN2at6native12_GLOBAL__N_125multi_tensor_apply_kernelINS1_18TensorListMetadataILi2EEENS1_27BinaryOpScalarTensorFunctorIN3c108BFloat16ELi2ELi1ELi1EEEJSt7dividesIfEPS7_fEEEvT_T0_DpT1_
; %bb.0:
	v_mov_b32_e32 v1, s6
	global_load_ubyte v1, v1, s[4:5] offset:1536
	s_load_dword s24, s[4:5], 0xc58
	s_add_u32 s0, s4, s6
	s_mul_hi_u32 s2, s6, 3
	s_mul_i32 s6, s6, 3
	s_addc_u32 s7, s5, 0
	s_add_u32 s6, s0, s6
	s_addc_u32 s7, s7, s2
	s_load_dword s6, s[6:7], 0x740
	s_mov_b32 s1, 0
	s_mov_b32 s15, s1
	;; [unrolled: 1-line block ×3, first 2 shown]
	s_waitcnt lgkmcnt(0)
	s_ashr_i32 s7, s6, 31
	s_lshl_b64 s[10:11], s[6:7], 17
	s_lshl_b64 s[6:7], s[6:7], 16
	s_waitcnt vmcnt(0)
	v_readfirstlane_b32 s0, v1
	s_lshl_b32 s0, s0, 3
	s_load_dwordx2 s[18:19], s[4:5], s0 offset:0x0
	s_load_dwordx2 s[8:9], s[4:5], 0xc50
	s_load_dwordx2 s[12:13], s[4:5], s0 offset:0x400
	s_load_dwordx2 s[16:17], s[4:5], s0 offset:0x200
	s_waitcnt lgkmcnt(0)
	s_and_b32 s0, s18, 7
	s_and_b32 s14, s12, 3
	;; [unrolled: 1-line block ×3, first 2 shown]
	s_or_b64 s[14:15], s[0:1], s[14:15]
	s_or_b64 s[2:3], s[2:3], s[14:15]
	s_sub_u32 s12, s12, s6
	s_subb_u32 s13, s13, s7
	s_cmp_eq_u64 s[2:3], 0
	s_mov_b64 s[2:3], -1
	s_cbranch_scc0 .LBB71_5
; %bb.1:
	v_mov_b32_e32 v3, 0
	v_lshlrev_b32_e32 v2, 2, v0
	v_cmp_gt_i64_e32 vcc, s[12:13], v[2:3]
	s_and_saveexec_b64 s[14:15], vcc
	s_cbranch_execz .LBB71_4
; %bb.2:
	s_load_dword s0, s[4:5], 0xc6c
	v_lshlrev_b32_e32 v1, 3, v0
	v_mov_b32_e32 v2, s11
	v_add_co_u32_e32 v4, vcc, s10, v1
	s_waitcnt lgkmcnt(0)
	s_and_b32 s0, s0, 0xffff
	v_addc_co_u32_e32 v1, vcc, 0, v2, vcc
	v_add_lshl_u32 v2, v0, s0, 2
	s_lshl_b32 s25, s0, 3
	s_lshl_b32 s26, s0, 2
	s_mov_b64 s[20:21], 0
	v_mov_b32_e32 v5, s19
	s_movk_i32 s27, 0x7fff
	v_mov_b32_e32 v8, s17
	v_mov_b32_e32 v9, 0x7fc00000
	;; [unrolled: 1-line block ×3, first 2 shown]
	s_mov_b64 s[22:23], 0xffff
	v_mov_b32_e32 v11, s1
	v_mov_b32_e32 v12, s1
	v_pk_mov_b32 v[6:7], v[2:3], v[2:3] op_sel:[0,1]
.LBB71_3:                               ; =>This Inner Loop Header: Depth=1
	v_add_co_u32_e32 v14, vcc, s18, v4
	v_addc_co_u32_e32 v15, vcc, v5, v1, vcc
	global_load_ushort v2, v3, s[8:9]
	v_add_co_u32_e32 v16, vcc, s16, v4
	global_load_dwordx2 v[14:15], v[14:15], off
	v_addc_co_u32_e32 v17, vcc, v8, v1, vcc
	v_cmp_le_i64_e32 vcc, s[12:13], v[6:7]
	v_cmp_lt_u64_e64 s[0:1], s[22:23], v[6:7]
	s_or_b64 s[0:1], vcc, s[0:1]
	v_add_co_u32_e64 v4, s[2:3], s25, v4
	s_and_b64 s[0:1], exec, s[0:1]
	v_addc_co_u32_e64 v1, s[2:3], v1, v11, s[2:3]
	s_or_b64 s[20:21], s[0:1], s[20:21]
	v_add_co_u32_e64 v6, s[2:3], s26, v6
	v_addc_co_u32_e64 v7, s[2:3], v7, v12, s[2:3]
	s_waitcnt vmcnt(1)
	v_lshlrev_b32_e32 v2, 16, v2
	v_mul_f32_e32 v2, s24, v2
	s_waitcnt vmcnt(0)
	v_lshlrev_b32_e32 v18, 16, v14
	v_and_b32_e32 v13, 0xffff0000, v14
	v_alignbit_b32 v14, v15, v14, 16
	v_div_scale_f32 v19, s[0:1], v2, v2, v18
	v_and_b32_e32 v15, 0xffff0000, v15
	v_div_scale_f32 v21, s[0:1], v2, v2, v13
	v_and_b32_e32 v14, 0xffff0000, v14
	v_rcp_f32_e32 v25, v19
	v_div_scale_f32 v23, s[2:3], v2, v2, v15
	v_rcp_f32_e32 v26, v21
	v_div_scale_f32 v27, s[6:7], v2, v2, v14
	v_rcp_f32_e32 v29, v23
	v_rcp_f32_e32 v30, v27
	v_fma_f32 v31, -v19, v25, 1.0
	v_div_scale_f32 v20, vcc, v18, v2, v18
	v_fma_f32 v32, -v21, v26, 1.0
	v_fmac_f32_e32 v25, v31, v25
	v_div_scale_f32 v22, s[0:1], v13, v2, v13
	v_fma_f32 v33, -v23, v29, 1.0
	v_fmac_f32_e32 v26, v32, v26
	v_fma_f32 v31, -v27, v30, 1.0
	v_mul_f32_e32 v32, v20, v25
	v_div_scale_f32 v28, s[6:7], v14, v2, v14
	v_fmac_f32_e32 v29, v33, v29
	v_mul_f32_e32 v33, v22, v26
	v_fmac_f32_e32 v30, v31, v30
	v_fma_f32 v34, -v19, v32, v20
	v_div_scale_f32 v24, s[2:3], v15, v2, v15
	v_fma_f32 v35, -v21, v33, v22
	v_mul_f32_e32 v36, v28, v30
	v_fmac_f32_e32 v32, v34, v25
	v_mul_f32_e32 v31, v24, v29
	v_fmac_f32_e32 v33, v35, v26
	v_fma_f32 v34, -v27, v36, v28
	v_fma_f32 v19, -v19, v32, v20
	v_fma_f32 v37, -v23, v31, v24
	v_fma_f32 v20, -v21, v33, v22
	v_fmac_f32_e32 v36, v34, v30
	v_div_fmas_f32 v19, v19, v25, v32
	s_mov_b64 vcc, s[0:1]
	v_fmac_f32_e32 v31, v37, v29
	v_fma_f32 v22, -v27, v36, v28
	v_div_fixup_f32 v18, v19, v2, v18
	v_div_fmas_f32 v19, v20, v26, v33
	s_mov_b64 vcc, s[6:7]
	v_fma_f32 v21, -v23, v31, v24
	v_bfe_u32 v20, v18, 16, 1
	v_div_fixup_f32 v13, v19, v2, v13
	v_div_fmas_f32 v19, v22, v30, v36
	s_mov_b64 vcc, s[2:3]
	v_add3_u32 v20, v18, v20, s27
	v_bfe_u32 v22, v13, 16, 1
	v_div_fixup_f32 v14, v19, v2, v14
	v_div_fmas_f32 v19, v21, v29, v31
	v_lshrrev_b32_e32 v20, 16, v20
	v_add3_u32 v21, v13, v22, s27
	v_bfe_u32 v22, v14, 16, 1
	v_div_fixup_f32 v2, v19, v2, v15
	v_cmp_o_f32_e32 vcc, v18, v18
	v_and_b32_e32 v15, 0xffff0000, v21
	v_add3_u32 v18, v14, v22, s27
	v_bfe_u32 v19, v2, 16, 1
	v_cndmask_b32_e32 v20, v10, v20, vcc
	v_cmp_o_f32_e32 vcc, v13, v13
	v_lshrrev_b32_e32 v13, 16, v18
	v_add3_u32 v18, v2, v19, s27
	v_cndmask_b32_e32 v15, v9, v15, vcc
	v_cmp_o_f32_e32 vcc, v14, v14
	v_and_b32_e32 v14, 0xffff0000, v18
	v_cndmask_b32_e32 v13, v10, v13, vcc
	v_cmp_o_f32_e32 vcc, v2, v2
	v_or_b32_e32 v15, v20, v15
	v_cndmask_b32_e32 v2, v9, v14, vcc
	v_or3_b32 v14, v15, 0, 0
	v_or3_b32 v15, 0, v13, v2
	global_store_dwordx2 v[16:17], v[14:15], off
	s_andn2_b64 exec, exec, s[20:21]
	s_cbranch_execnz .LBB71_3
.LBB71_4:
	s_or_b64 exec, exec, s[14:15]
	s_mov_b64 s[2:3], 0
.LBB71_5:
	s_andn2_b64 vcc, exec, s[2:3]
	s_cbranch_vccnz .LBB71_25
; %bb.6:
	v_cmp_lt_i64_e64 s[0:1], s[12:13], 1
	s_and_b64 vcc, exec, s[0:1]
	s_cbranch_vccnz .LBB71_25
; %bb.7:
	s_load_dword s0, s[4:5], 0xc6c
	v_mov_b32_e32 v4, 0x10000
	v_mov_b32_e32 v5, 0
	v_cmp_lt_u64_e32 vcc, s[12:13], v[4:5]
	v_lshlrev_b32_e32 v2, 1, v0
	s_waitcnt lgkmcnt(0)
	s_and_b32 s2, s0, 0xffff
	s_and_b64 s[0:1], vcc, exec
	v_mov_b32_e32 v15, s19
	v_add_co_u32_e32 v4, vcc, s18, v2
	v_addc_co_u32_e32 v1, vcc, 0, v15, vcc
	v_mov_b32_e32 v3, 0
	v_mov_b32_e32 v17, s17
	v_add_co_u32_e32 v6, vcc, s16, v2
	v_addc_co_u32_e32 v5, vcc, 0, v17, vcc
	v_mad_u64_u32 v[10:11], s[0:1], s2, 6, v[2:3]
	v_add_co_u32_e32 v8, vcc, s18, v10
	v_addc_co_u32_e32 v7, vcc, v15, v11, vcc
	v_add_co_u32_e32 v10, vcc, s16, v10
	s_mul_i32 s4, s2, 3
	v_addc_co_u32_e32 v9, vcc, v17, v11, vcc
	s_cselect_b32 s15, s13, 0
	s_cselect_b32 s14, s12, 0x10000
	s_lshl_b32 s21, s2, 2
	v_add_co_u32_e32 v18, vcc, s4, v0
	v_addc_co_u32_e64 v19, s[0:1], 0, 0, vcc
	v_add_co_u32_e32 v12, vcc, s21, v2
	v_addc_co_u32_e64 v13, s[0:1], 0, 0, vcc
	v_add_co_u32_e32 v2, vcc, s18, v12
	v_addc_co_u32_e32 v11, vcc, v15, v13, vcc
	v_add_co_u32_e32 v12, vcc, s16, v12
	s_lshl_b32 s3, s2, 1
	v_addc_co_u32_e32 v13, vcc, v17, v13, vcc
	v_add_co_u32_e32 v20, vcc, s3, v0
	v_addc_co_u32_e64 v21, s[0:1], 0, 0, vcc
	v_add_co_u32_e32 v22, vcc, s2, v0
	v_lshlrev_b32_e32 v16, 1, v22
	v_addc_co_u32_e64 v23, s[0:1], 0, 0, vcc
	v_add_co_u32_e32 v14, vcc, s18, v16
	v_addc_co_u32_e32 v15, vcc, 0, v15, vcc
	v_add_co_u32_e32 v16, vcc, s16, v16
	s_mov_b32 s20, 0
	s_lshl_b32 s22, s2, 3
	v_addc_co_u32_e32 v17, vcc, 0, v17, vcc
	s_mov_b64 s[16:17], 0
	s_movk_i32 s23, 0x7fff
	v_mov_b32_e32 v24, 0x7fc0
	s_branch .LBB71_9
.LBB71_8:                               ;   in Loop: Header=BB71_9 Depth=1
	s_or_b64 exec, exec, s[2:3]
	s_add_u32 s16, s16, s21
	s_addc_u32 s17, s17, 0
	v_pk_mov_b32 v[26:27], s[12:13], s[12:13] op_sel:[0,1]
	v_cmp_ge_i64_e32 vcc, s[16:17], v[26:27]
	v_mov_b32_e32 v26, 0xffff
	v_mov_b32_e32 v27, 0
	v_cmp_gt_u64_e64 s[0:1], s[16:17], v[26:27]
	s_or_b64 s[0:1], vcc, s[0:1]
	v_mov_b32_e32 v25, s20
	v_add_co_u32_e32 v4, vcc, s22, v4
	v_addc_co_u32_e32 v1, vcc, v1, v25, vcc
	v_add_co_u32_e32 v6, vcc, s22, v6
	v_addc_co_u32_e32 v5, vcc, v5, v25, vcc
	;; [unrolled: 2-line block ×8, first 2 shown]
	s_and_b64 vcc, exec, s[0:1]
	s_cbranch_vccnz .LBB71_25
.LBB71_9:                               ; =>This Inner Loop Header: Depth=1
	v_mov_b32_e32 v25, s17
	v_add_co_u32_e32 v26, vcc, s16, v0
	v_addc_co_u32_e32 v27, vcc, 0, v25, vcc
	v_cmp_gt_u64_e32 vcc, s[14:15], v[26:27]
	v_mov_b32_e32 v29, 0
	s_and_saveexec_b64 s[2:3], vcc
	s_cbranch_execz .LBB71_11
; %bb.10:                               ;   in Loop: Header=BB71_9 Depth=1
	v_mov_b32_e32 v25, s11
	v_add_co_u32_e64 v26, s[0:1], s10, v4
	v_addc_co_u32_e64 v27, s[0:1], v1, v25, s[0:1]
	global_load_ushort v29, v[26:27], off
.LBB71_11:                              ;   in Loop: Header=BB71_9 Depth=1
	s_or_b64 exec, exec, s[2:3]
	v_mov_b32_e32 v25, s17
	v_add_co_u32_e64 v26, s[0:1], s16, v22
	v_addc_co_u32_e64 v27, s[0:1], v23, v25, s[0:1]
	v_cmp_gt_u64_e64 s[4:5], s[14:15], v[26:27]
	v_mov_b32_e32 v25, 0
	v_mov_b32_e32 v28, 0
	s_and_saveexec_b64 s[2:3], s[4:5]
	s_cbranch_execz .LBB71_13
; %bb.12:                               ;   in Loop: Header=BB71_9 Depth=1
	v_mov_b32_e32 v27, s11
	v_add_co_u32_e64 v26, s[0:1], s10, v14
	v_addc_co_u32_e64 v27, s[0:1], v15, v27, s[0:1]
	global_load_ushort v28, v[26:27], off
.LBB71_13:                              ;   in Loop: Header=BB71_9 Depth=1
	s_or_b64 exec, exec, s[2:3]
	v_mov_b32_e32 v27, s17
	v_add_co_u32_e64 v26, s[0:1], s16, v20
	v_addc_co_u32_e64 v27, s[0:1], v21, v27, s[0:1]
	v_cmp_gt_u64_e64 s[2:3], s[14:15], v[26:27]
	s_and_saveexec_b64 s[6:7], s[2:3]
	s_cbranch_execz .LBB71_15
; %bb.14:                               ;   in Loop: Header=BB71_9 Depth=1
	v_mov_b32_e32 v25, s11
	v_add_co_u32_e64 v26, s[0:1], s10, v2
	v_addc_co_u32_e64 v27, s[0:1], v11, v25, s[0:1]
	global_load_ushort v25, v[26:27], off
.LBB71_15:                              ;   in Loop: Header=BB71_9 Depth=1
	s_or_b64 exec, exec, s[6:7]
	v_mov_b32_e32 v27, s17
	v_add_co_u32_e64 v26, s[0:1], s16, v18
	v_addc_co_u32_e64 v27, s[0:1], v19, v27, s[0:1]
	v_cmp_gt_u64_e64 s[0:1], s[14:15], v[26:27]
	v_mov_b32_e32 v27, 0
	s_and_saveexec_b64 s[18:19], s[0:1]
	s_cbranch_execz .LBB71_17
; %bb.16:                               ;   in Loop: Header=BB71_9 Depth=1
	v_mov_b32_e32 v27, s11
	v_add_co_u32_e64 v26, s[6:7], s10, v8
	v_addc_co_u32_e64 v27, s[6:7], v7, v27, s[6:7]
	global_load_ushort v27, v[26:27], off
.LBB71_17:                              ;   in Loop: Header=BB71_9 Depth=1
	s_or_b64 exec, exec, s[18:19]
	global_load_ushort v26, v3, s[8:9]
	s_waitcnt vmcnt(0)
	v_lshlrev_b32_e32 v26, 16, v26
	v_mul_f32_e32 v26, s24, v26
	s_and_saveexec_b64 s[6:7], vcc
	s_cbranch_execnz .LBB71_21
; %bb.18:                               ;   in Loop: Header=BB71_9 Depth=1
	s_or_b64 exec, exec, s[6:7]
	s_and_saveexec_b64 s[6:7], s[4:5]
	s_cbranch_execnz .LBB71_22
.LBB71_19:                              ;   in Loop: Header=BB71_9 Depth=1
	s_or_b64 exec, exec, s[6:7]
	s_and_saveexec_b64 s[4:5], s[2:3]
	s_cbranch_execnz .LBB71_23
.LBB71_20:                              ;   in Loop: Header=BB71_9 Depth=1
	s_or_b64 exec, exec, s[4:5]
	s_and_saveexec_b64 s[2:3], s[0:1]
	s_cbranch_execz .LBB71_8
	s_branch .LBB71_24
.LBB71_21:                              ;   in Loop: Header=BB71_9 Depth=1
	v_lshlrev_b32_e32 v29, 16, v29
	v_div_scale_f32 v30, s[18:19], v26, v26, v29
	v_rcp_f32_e32 v31, v30
	v_div_scale_f32 v32, vcc, v29, v26, v29
	v_fma_f32 v33, -v30, v31, 1.0
	v_fmac_f32_e32 v31, v33, v31
	v_mul_f32_e32 v33, v32, v31
	v_fma_f32 v34, -v30, v33, v32
	v_fmac_f32_e32 v33, v34, v31
	v_fma_f32 v30, -v30, v33, v32
	v_div_fmas_f32 v30, v30, v31, v33
	v_div_fixup_f32 v29, v30, v26, v29
	v_bfe_u32 v30, v29, 16, 1
	v_add3_u32 v30, v29, v30, s23
	v_lshrrev_b32_e32 v30, 16, v30
	v_cmp_o_f32_e32 vcc, v29, v29
	v_cndmask_b32_e32 v29, v24, v30, vcc
	v_mov_b32_e32 v31, s11
	v_add_co_u32_e32 v30, vcc, s10, v6
	v_addc_co_u32_e32 v31, vcc, v5, v31, vcc
	global_store_short v[30:31], v29, off
	s_or_b64 exec, exec, s[6:7]
	s_and_saveexec_b64 s[6:7], s[4:5]
	s_cbranch_execz .LBB71_19
.LBB71_22:                              ;   in Loop: Header=BB71_9 Depth=1
	v_lshlrev_b32_e32 v28, 16, v28
	v_div_scale_f32 v29, s[4:5], v26, v26, v28
	v_rcp_f32_e32 v30, v29
	v_div_scale_f32 v31, vcc, v28, v26, v28
	v_fma_f32 v32, -v29, v30, 1.0
	v_fmac_f32_e32 v30, v32, v30
	v_mul_f32_e32 v32, v31, v30
	v_fma_f32 v33, -v29, v32, v31
	v_fmac_f32_e32 v32, v33, v30
	v_fma_f32 v29, -v29, v32, v31
	v_div_fmas_f32 v29, v29, v30, v32
	v_div_fixup_f32 v28, v29, v26, v28
	v_bfe_u32 v29, v28, 16, 1
	v_add3_u32 v29, v28, v29, s23
	v_lshrrev_b32_e32 v29, 16, v29
	v_cmp_o_f32_e32 vcc, v28, v28
	v_cndmask_b32_e32 v30, v24, v29, vcc
	v_mov_b32_e32 v29, s11
	v_add_co_u32_e32 v28, vcc, s10, v16
	v_addc_co_u32_e32 v29, vcc, v17, v29, vcc
	global_store_short v[28:29], v30, off
	s_or_b64 exec, exec, s[6:7]
	s_and_saveexec_b64 s[4:5], s[2:3]
	s_cbranch_execz .LBB71_20
.LBB71_23:                              ;   in Loop: Header=BB71_9 Depth=1
	v_lshlrev_b32_e32 v25, 16, v25
	v_div_scale_f32 v28, s[2:3], v26, v26, v25
	v_rcp_f32_e32 v29, v28
	v_div_scale_f32 v30, vcc, v25, v26, v25
	v_fma_f32 v31, -v28, v29, 1.0
	v_fmac_f32_e32 v29, v31, v29
	v_mul_f32_e32 v31, v30, v29
	v_fma_f32 v32, -v28, v31, v30
	v_fmac_f32_e32 v31, v32, v29
	v_fma_f32 v28, -v28, v31, v30
	v_div_fmas_f32 v28, v28, v29, v31
	v_div_fixup_f32 v25, v28, v26, v25
	v_bfe_u32 v28, v25, 16, 1
	v_add3_u32 v28, v25, v28, s23
	v_lshrrev_b32_e32 v28, 16, v28
	v_cmp_o_f32_e32 vcc, v25, v25
	v_cndmask_b32_e32 v25, v24, v28, vcc
	v_mov_b32_e32 v29, s11
	v_add_co_u32_e32 v28, vcc, s10, v12
	v_addc_co_u32_e32 v29, vcc, v13, v29, vcc
	global_store_short v[28:29], v25, off
	s_or_b64 exec, exec, s[4:5]
	s_and_saveexec_b64 s[2:3], s[0:1]
	s_cbranch_execz .LBB71_8
.LBB71_24:                              ;   in Loop: Header=BB71_9 Depth=1
	v_lshlrev_b32_e32 v25, 16, v27
	v_div_scale_f32 v27, s[0:1], v26, v26, v25
	v_rcp_f32_e32 v28, v27
	v_div_scale_f32 v29, vcc, v25, v26, v25
	v_fma_f32 v30, -v27, v28, 1.0
	v_fmac_f32_e32 v28, v30, v28
	v_mul_f32_e32 v30, v29, v28
	v_fma_f32 v31, -v27, v30, v29
	v_fmac_f32_e32 v30, v31, v28
	v_fma_f32 v27, -v27, v30, v29
	v_div_fmas_f32 v27, v27, v28, v30
	v_div_fixup_f32 v25, v27, v26, v25
	v_bfe_u32 v26, v25, 16, 1
	v_add3_u32 v26, v25, v26, s23
	v_lshrrev_b32_e32 v26, 16, v26
	v_cmp_o_f32_e32 vcc, v25, v25
	v_cndmask_b32_e32 v25, v24, v26, vcc
	v_mov_b32_e32 v27, s11
	v_add_co_u32_e32 v26, vcc, s10, v10
	v_addc_co_u32_e32 v27, vcc, v9, v27, vcc
	global_store_short v[26:27], v25, off
	s_branch .LBB71_8
.LBB71_25:
	s_endpgm
	.section	.rodata,"a",@progbits
	.p2align	6, 0x0
	.amdhsa_kernel _ZN2at6native12_GLOBAL__N_125multi_tensor_apply_kernelINS1_18TensorListMetadataILi2EEENS1_27BinaryOpScalarTensorFunctorIN3c108BFloat16ELi2ELi1ELi1EEEJSt7dividesIfEPS7_fEEEvT_T0_DpT1_
		.amdhsa_group_segment_fixed_size 0
		.amdhsa_private_segment_fixed_size 0
		.amdhsa_kernarg_size 3424
		.amdhsa_user_sgpr_count 6
		.amdhsa_user_sgpr_private_segment_buffer 1
		.amdhsa_user_sgpr_dispatch_ptr 0
		.amdhsa_user_sgpr_queue_ptr 0
		.amdhsa_user_sgpr_kernarg_segment_ptr 1
		.amdhsa_user_sgpr_dispatch_id 0
		.amdhsa_user_sgpr_flat_scratch_init 0
		.amdhsa_user_sgpr_kernarg_preload_length 0
		.amdhsa_user_sgpr_kernarg_preload_offset 0
		.amdhsa_user_sgpr_private_segment_size 0
		.amdhsa_uses_dynamic_stack 0
		.amdhsa_system_sgpr_private_segment_wavefront_offset 0
		.amdhsa_system_sgpr_workgroup_id_x 1
		.amdhsa_system_sgpr_workgroup_id_y 0
		.amdhsa_system_sgpr_workgroup_id_z 0
		.amdhsa_system_sgpr_workgroup_info 0
		.amdhsa_system_vgpr_workitem_id 0
		.amdhsa_next_free_vgpr 38
		.amdhsa_next_free_sgpr 28
		.amdhsa_accum_offset 40
		.amdhsa_reserve_vcc 1
		.amdhsa_reserve_flat_scratch 0
		.amdhsa_float_round_mode_32 0
		.amdhsa_float_round_mode_16_64 0
		.amdhsa_float_denorm_mode_32 3
		.amdhsa_float_denorm_mode_16_64 3
		.amdhsa_dx10_clamp 1
		.amdhsa_ieee_mode 1
		.amdhsa_fp16_overflow 0
		.amdhsa_tg_split 0
		.amdhsa_exception_fp_ieee_invalid_op 0
		.amdhsa_exception_fp_denorm_src 0
		.amdhsa_exception_fp_ieee_div_zero 0
		.amdhsa_exception_fp_ieee_overflow 0
		.amdhsa_exception_fp_ieee_underflow 0
		.amdhsa_exception_fp_ieee_inexact 0
		.amdhsa_exception_int_div_zero 0
	.end_amdhsa_kernel
	.section	.text._ZN2at6native12_GLOBAL__N_125multi_tensor_apply_kernelINS1_18TensorListMetadataILi2EEENS1_27BinaryOpScalarTensorFunctorIN3c108BFloat16ELi2ELi1ELi1EEEJSt7dividesIfEPS7_fEEEvT_T0_DpT1_,"axG",@progbits,_ZN2at6native12_GLOBAL__N_125multi_tensor_apply_kernelINS1_18TensorListMetadataILi2EEENS1_27BinaryOpScalarTensorFunctorIN3c108BFloat16ELi2ELi1ELi1EEEJSt7dividesIfEPS7_fEEEvT_T0_DpT1_,comdat
.Lfunc_end71:
	.size	_ZN2at6native12_GLOBAL__N_125multi_tensor_apply_kernelINS1_18TensorListMetadataILi2EEENS1_27BinaryOpScalarTensorFunctorIN3c108BFloat16ELi2ELi1ELi1EEEJSt7dividesIfEPS7_fEEEvT_T0_DpT1_, .Lfunc_end71-_ZN2at6native12_GLOBAL__N_125multi_tensor_apply_kernelINS1_18TensorListMetadataILi2EEENS1_27BinaryOpScalarTensorFunctorIN3c108BFloat16ELi2ELi1ELi1EEEJSt7dividesIfEPS7_fEEEvT_T0_DpT1_
                                        ; -- End function
	.section	.AMDGPU.csdata,"",@progbits
; Kernel info:
; codeLenInByte = 2164
; NumSgprs: 32
; NumVgprs: 38
; NumAgprs: 0
; TotalNumVgprs: 38
; ScratchSize: 0
; MemoryBound: 0
; FloatMode: 240
; IeeeMode: 1
; LDSByteSize: 0 bytes/workgroup (compile time only)
; SGPRBlocks: 3
; VGPRBlocks: 4
; NumSGPRsForWavesPerEU: 32
; NumVGPRsForWavesPerEU: 38
; AccumOffset: 40
; Occupancy: 8
; WaveLimiterHint : 0
; COMPUTE_PGM_RSRC2:SCRATCH_EN: 0
; COMPUTE_PGM_RSRC2:USER_SGPR: 6
; COMPUTE_PGM_RSRC2:TRAP_HANDLER: 0
; COMPUTE_PGM_RSRC2:TGID_X_EN: 1
; COMPUTE_PGM_RSRC2:TGID_Y_EN: 0
; COMPUTE_PGM_RSRC2:TGID_Z_EN: 0
; COMPUTE_PGM_RSRC2:TIDIG_COMP_CNT: 0
; COMPUTE_PGM_RSRC3_GFX90A:ACCUM_OFFSET: 9
; COMPUTE_PGM_RSRC3_GFX90A:TG_SPLIT: 0
	.text
	.p2alignl 6, 3212836864
	.fill 256, 4, 3212836864
	.type	__hip_cuid_99050b3c8ec86f7d,@object ; @__hip_cuid_99050b3c8ec86f7d
	.section	.bss,"aw",@nobits
	.globl	__hip_cuid_99050b3c8ec86f7d
__hip_cuid_99050b3c8ec86f7d:
	.byte	0                               ; 0x0
	.size	__hip_cuid_99050b3c8ec86f7d, 1

	.ident	"AMD clang version 19.0.0git (https://github.com/RadeonOpenCompute/llvm-project roc-6.4.0 25133 c7fe45cf4b819c5991fe208aaa96edf142730f1d)"
	.section	".note.GNU-stack","",@progbits
	.addrsig
	.addrsig_sym __hip_cuid_99050b3c8ec86f7d
	.amdgpu_metadata
---
amdhsa.kernels:
  - .agpr_count:     0
    .args:
      - .offset:         0
        .size:           3368
        .value_kind:     by_value
      - .offset:         3368
        .size:           1
        .value_kind:     by_value
      - .offset:         3369
        .size:           1
        .value_kind:     by_value
      - .address_space:  global
        .offset:         3376
        .size:           8
        .value_kind:     global_buffer
      - .offset:         3384
        .size:           1
        .value_kind:     by_value
      - .offset:         3392
        .size:           4
        .value_kind:     hidden_block_count_x
      - .offset:         3396
        .size:           4
        .value_kind:     hidden_block_count_y
      - .offset:         3400
        .size:           4
        .value_kind:     hidden_block_count_z
      - .offset:         3404
        .size:           2
        .value_kind:     hidden_group_size_x
      - .offset:         3406
        .size:           2
        .value_kind:     hidden_group_size_y
      - .offset:         3408
        .size:           2
        .value_kind:     hidden_group_size_z
      - .offset:         3410
        .size:           2
        .value_kind:     hidden_remainder_x
      - .offset:         3412
        .size:           2
        .value_kind:     hidden_remainder_y
      - .offset:         3414
        .size:           2
        .value_kind:     hidden_remainder_z
      - .offset:         3432
        .size:           8
        .value_kind:     hidden_global_offset_x
      - .offset:         3440
        .size:           8
        .value_kind:     hidden_global_offset_y
      - .offset:         3448
        .size:           8
        .value_kind:     hidden_global_offset_z
      - .offset:         3456
        .size:           2
        .value_kind:     hidden_grid_dims
    .group_segment_fixed_size: 0
    .kernarg_segment_align: 8
    .kernarg_segment_size: 3648
    .language:       OpenCL C
    .language_version:
      - 2
      - 0
    .max_flat_workgroup_size: 512
    .name:           _ZN2at6native12_GLOBAL__N_125multi_tensor_apply_kernelINS1_18TensorListMetadataILi1EEENS1_27BinaryOpScalarTensorFunctorIhLi1ELi1ELi0EEEJSt4plusIhEPhhEEEvT_T0_DpT1_
    .private_segment_fixed_size: 0
    .sgpr_count:     29
    .sgpr_spill_count: 0
    .symbol:         _ZN2at6native12_GLOBAL__N_125multi_tensor_apply_kernelINS1_18TensorListMetadataILi1EEENS1_27BinaryOpScalarTensorFunctorIhLi1ELi1ELi0EEEJSt4plusIhEPhhEEEvT_T0_DpT1_.kd
    .uniform_work_group_size: 1
    .uses_dynamic_stack: false
    .vgpr_count:     28
    .vgpr_spill_count: 0
    .wavefront_size: 64
  - .agpr_count:     0
    .args:
      - .offset:         0
        .size:           3368
        .value_kind:     by_value
      - .offset:         3368
        .size:           1
        .value_kind:     by_value
      - .offset:         3369
        .size:           1
        .value_kind:     by_value
      - .address_space:  global
        .offset:         3376
        .size:           8
        .value_kind:     global_buffer
      - .offset:         3384
        .size:           1
        .value_kind:     by_value
      - .offset:         3392
        .size:           4
        .value_kind:     hidden_block_count_x
      - .offset:         3396
        .size:           4
        .value_kind:     hidden_block_count_y
      - .offset:         3400
        .size:           4
        .value_kind:     hidden_block_count_z
      - .offset:         3404
        .size:           2
        .value_kind:     hidden_group_size_x
      - .offset:         3406
        .size:           2
        .value_kind:     hidden_group_size_y
      - .offset:         3408
        .size:           2
        .value_kind:     hidden_group_size_z
      - .offset:         3410
        .size:           2
        .value_kind:     hidden_remainder_x
      - .offset:         3412
        .size:           2
        .value_kind:     hidden_remainder_y
      - .offset:         3414
        .size:           2
        .value_kind:     hidden_remainder_z
      - .offset:         3432
        .size:           8
        .value_kind:     hidden_global_offset_x
      - .offset:         3440
        .size:           8
        .value_kind:     hidden_global_offset_y
      - .offset:         3448
        .size:           8
        .value_kind:     hidden_global_offset_z
      - .offset:         3456
        .size:           2
        .value_kind:     hidden_grid_dims
    .group_segment_fixed_size: 0
    .kernarg_segment_align: 8
    .kernarg_segment_size: 3648
    .language:       OpenCL C
    .language_version:
      - 2
      - 0
    .max_flat_workgroup_size: 512
    .name:           _ZN2at6native12_GLOBAL__N_125multi_tensor_apply_kernelINS1_18TensorListMetadataILi1EEENS1_27BinaryOpScalarTensorFunctorIaLi1ELi1ELi0EEEJSt4plusIaEPaaEEEvT_T0_DpT1_
    .private_segment_fixed_size: 0
    .sgpr_count:     29
    .sgpr_spill_count: 0
    .symbol:         _ZN2at6native12_GLOBAL__N_125multi_tensor_apply_kernelINS1_18TensorListMetadataILi1EEENS1_27BinaryOpScalarTensorFunctorIaLi1ELi1ELi0EEEJSt4plusIaEPaaEEEvT_T0_DpT1_.kd
    .uniform_work_group_size: 1
    .uses_dynamic_stack: false
    .vgpr_count:     28
    .vgpr_spill_count: 0
    .wavefront_size: 64
  - .agpr_count:     0
    .args:
      - .offset:         0
        .size:           3368
        .value_kind:     by_value
      - .offset:         3368
        .size:           1
        .value_kind:     by_value
      - .offset:         3369
        .size:           1
        .value_kind:     by_value
      - .address_space:  global
        .offset:         3376
        .size:           8
        .value_kind:     global_buffer
      - .offset:         3384
        .size:           4
        .value_kind:     by_value
      - .offset:         3392
        .size:           4
        .value_kind:     hidden_block_count_x
      - .offset:         3396
        .size:           4
        .value_kind:     hidden_block_count_y
      - .offset:         3400
        .size:           4
        .value_kind:     hidden_block_count_z
      - .offset:         3404
        .size:           2
        .value_kind:     hidden_group_size_x
      - .offset:         3406
        .size:           2
        .value_kind:     hidden_group_size_y
      - .offset:         3408
        .size:           2
        .value_kind:     hidden_group_size_z
      - .offset:         3410
        .size:           2
        .value_kind:     hidden_remainder_x
      - .offset:         3412
        .size:           2
        .value_kind:     hidden_remainder_y
      - .offset:         3414
        .size:           2
        .value_kind:     hidden_remainder_z
      - .offset:         3432
        .size:           8
        .value_kind:     hidden_global_offset_x
      - .offset:         3440
        .size:           8
        .value_kind:     hidden_global_offset_y
      - .offset:         3448
        .size:           8
        .value_kind:     hidden_global_offset_z
      - .offset:         3456
        .size:           2
        .value_kind:     hidden_grid_dims
    .group_segment_fixed_size: 0
    .kernarg_segment_align: 8
    .kernarg_segment_size: 3648
    .language:       OpenCL C
    .language_version:
      - 2
      - 0
    .max_flat_workgroup_size: 512
    .name:           _ZN2at6native12_GLOBAL__N_125multi_tensor_apply_kernelINS1_18TensorListMetadataILi1EEENS1_27BinaryOpScalarTensorFunctorIiLi1ELi1ELi0EEEJSt4plusIiEPiiEEEvT_T0_DpT1_
    .private_segment_fixed_size: 0
    .sgpr_count:     35
    .sgpr_spill_count: 0
    .symbol:         _ZN2at6native12_GLOBAL__N_125multi_tensor_apply_kernelINS1_18TensorListMetadataILi1EEENS1_27BinaryOpScalarTensorFunctorIiLi1ELi1ELi0EEEJSt4plusIiEPiiEEEvT_T0_DpT1_.kd
    .uniform_work_group_size: 1
    .uses_dynamic_stack: false
    .vgpr_count:     22
    .vgpr_spill_count: 0
    .wavefront_size: 64
  - .agpr_count:     0
    .args:
      - .offset:         0
        .size:           3368
        .value_kind:     by_value
      - .offset:         3368
        .size:           1
        .value_kind:     by_value
      - .offset:         3369
        .size:           1
        .value_kind:     by_value
      - .address_space:  global
        .offset:         3376
        .size:           8
        .value_kind:     global_buffer
      - .offset:         3384
        .size:           8
        .value_kind:     by_value
      - .offset:         3392
        .size:           4
        .value_kind:     hidden_block_count_x
      - .offset:         3396
        .size:           4
        .value_kind:     hidden_block_count_y
      - .offset:         3400
        .size:           4
        .value_kind:     hidden_block_count_z
      - .offset:         3404
        .size:           2
        .value_kind:     hidden_group_size_x
      - .offset:         3406
        .size:           2
        .value_kind:     hidden_group_size_y
      - .offset:         3408
        .size:           2
        .value_kind:     hidden_group_size_z
      - .offset:         3410
        .size:           2
        .value_kind:     hidden_remainder_x
      - .offset:         3412
        .size:           2
        .value_kind:     hidden_remainder_y
      - .offset:         3414
        .size:           2
        .value_kind:     hidden_remainder_z
      - .offset:         3432
        .size:           8
        .value_kind:     hidden_global_offset_x
      - .offset:         3440
        .size:           8
        .value_kind:     hidden_global_offset_y
      - .offset:         3448
        .size:           8
        .value_kind:     hidden_global_offset_z
      - .offset:         3456
        .size:           2
        .value_kind:     hidden_grid_dims
    .group_segment_fixed_size: 0
    .kernarg_segment_align: 8
    .kernarg_segment_size: 3648
    .language:       OpenCL C
    .language_version:
      - 2
      - 0
    .max_flat_workgroup_size: 512
    .name:           _ZN2at6native12_GLOBAL__N_125multi_tensor_apply_kernelINS1_18TensorListMetadataILi1EEENS1_27BinaryOpScalarTensorFunctorIlLi1ELi1ELi0EEEJSt4plusIlEPllEEEvT_T0_DpT1_
    .private_segment_fixed_size: 0
    .sgpr_count:     36
    .sgpr_spill_count: 0
    .symbol:         _ZN2at6native12_GLOBAL__N_125multi_tensor_apply_kernelINS1_18TensorListMetadataILi1EEENS1_27BinaryOpScalarTensorFunctorIlLi1ELi1ELi0EEEJSt4plusIlEPllEEEvT_T0_DpT1_.kd
    .uniform_work_group_size: 1
    .uses_dynamic_stack: false
    .vgpr_count:     26
    .vgpr_spill_count: 0
    .wavefront_size: 64
  - .agpr_count:     0
    .args:
      - .offset:         0
        .size:           3368
        .value_kind:     by_value
      - .offset:         3368
        .size:           1
        .value_kind:     by_value
      - .offset:         3369
        .size:           1
        .value_kind:     by_value
      - .address_space:  global
        .offset:         3376
        .size:           8
        .value_kind:     global_buffer
      - .offset:         3384
        .size:           2
        .value_kind:     by_value
      - .offset:         3392
        .size:           4
        .value_kind:     hidden_block_count_x
      - .offset:         3396
        .size:           4
        .value_kind:     hidden_block_count_y
      - .offset:         3400
        .size:           4
        .value_kind:     hidden_block_count_z
      - .offset:         3404
        .size:           2
        .value_kind:     hidden_group_size_x
      - .offset:         3406
        .size:           2
        .value_kind:     hidden_group_size_y
      - .offset:         3408
        .size:           2
        .value_kind:     hidden_group_size_z
      - .offset:         3410
        .size:           2
        .value_kind:     hidden_remainder_x
      - .offset:         3412
        .size:           2
        .value_kind:     hidden_remainder_y
      - .offset:         3414
        .size:           2
        .value_kind:     hidden_remainder_z
      - .offset:         3432
        .size:           8
        .value_kind:     hidden_global_offset_x
      - .offset:         3440
        .size:           8
        .value_kind:     hidden_global_offset_y
      - .offset:         3448
        .size:           8
        .value_kind:     hidden_global_offset_z
      - .offset:         3456
        .size:           2
        .value_kind:     hidden_grid_dims
    .group_segment_fixed_size: 0
    .kernarg_segment_align: 8
    .kernarg_segment_size: 3648
    .language:       OpenCL C
    .language_version:
      - 2
      - 0
    .max_flat_workgroup_size: 512
    .name:           _ZN2at6native12_GLOBAL__N_125multi_tensor_apply_kernelINS1_18TensorListMetadataILi1EEENS1_27BinaryOpScalarTensorFunctorIsLi1ELi1ELi0EEEJSt4plusIsEPssEEEvT_T0_DpT1_
    .private_segment_fixed_size: 0
    .sgpr_count:     35
    .sgpr_spill_count: 0
    .symbol:         _ZN2at6native12_GLOBAL__N_125multi_tensor_apply_kernelINS1_18TensorListMetadataILi1EEENS1_27BinaryOpScalarTensorFunctorIsLi1ELi1ELi0EEEJSt4plusIsEPssEEEvT_T0_DpT1_.kd
    .uniform_work_group_size: 1
    .uses_dynamic_stack: false
    .vgpr_count:     22
    .vgpr_spill_count: 0
    .wavefront_size: 64
  - .agpr_count:     0
    .args:
      - .offset:         0
        .size:           3368
        .value_kind:     by_value
      - .offset:         3368
        .size:           1
        .value_kind:     by_value
      - .offset:         3369
        .size:           1
        .value_kind:     by_value
      - .address_space:  global
        .offset:         3376
        .size:           8
        .value_kind:     global_buffer
      - .offset:         3384
        .size:           8
        .value_kind:     by_value
      - .offset:         3392
        .size:           4
        .value_kind:     hidden_block_count_x
      - .offset:         3396
        .size:           4
        .value_kind:     hidden_block_count_y
      - .offset:         3400
        .size:           4
        .value_kind:     hidden_block_count_z
      - .offset:         3404
        .size:           2
        .value_kind:     hidden_group_size_x
      - .offset:         3406
        .size:           2
        .value_kind:     hidden_group_size_y
      - .offset:         3408
        .size:           2
        .value_kind:     hidden_group_size_z
      - .offset:         3410
        .size:           2
        .value_kind:     hidden_remainder_x
      - .offset:         3412
        .size:           2
        .value_kind:     hidden_remainder_y
      - .offset:         3414
        .size:           2
        .value_kind:     hidden_remainder_z
      - .offset:         3432
        .size:           8
        .value_kind:     hidden_global_offset_x
      - .offset:         3440
        .size:           8
        .value_kind:     hidden_global_offset_y
      - .offset:         3448
        .size:           8
        .value_kind:     hidden_global_offset_z
      - .offset:         3456
        .size:           2
        .value_kind:     hidden_grid_dims
    .group_segment_fixed_size: 0
    .kernarg_segment_align: 8
    .kernarg_segment_size: 3648
    .language:       OpenCL C
    .language_version:
      - 2
      - 0
    .max_flat_workgroup_size: 512
    .name:           _ZN2at6native12_GLOBAL__N_125multi_tensor_apply_kernelINS1_18TensorListMetadataILi1EEENS1_27BinaryOpScalarTensorFunctorIdLi1ELi1ELi0EEEJSt4plusIdEPddEEEvT_T0_DpT1_
    .private_segment_fixed_size: 0
    .sgpr_count:     36
    .sgpr_spill_count: 0
    .symbol:         _ZN2at6native12_GLOBAL__N_125multi_tensor_apply_kernelINS1_18TensorListMetadataILi1EEENS1_27BinaryOpScalarTensorFunctorIdLi1ELi1ELi0EEEJSt4plusIdEPddEEEvT_T0_DpT1_.kd
    .uniform_work_group_size: 1
    .uses_dynamic_stack: false
    .vgpr_count:     25
    .vgpr_spill_count: 0
    .wavefront_size: 64
  - .agpr_count:     0
    .args:
      - .offset:         0
        .size:           3368
        .value_kind:     by_value
      - .offset:         3368
        .size:           1
        .value_kind:     by_value
      - .offset:         3369
        .size:           1
        .value_kind:     by_value
      - .address_space:  global
        .offset:         3376
        .size:           8
        .value_kind:     global_buffer
      - .offset:         3384
        .size:           4
        .value_kind:     by_value
      - .offset:         3392
        .size:           4
        .value_kind:     hidden_block_count_x
      - .offset:         3396
        .size:           4
        .value_kind:     hidden_block_count_y
      - .offset:         3400
        .size:           4
        .value_kind:     hidden_block_count_z
      - .offset:         3404
        .size:           2
        .value_kind:     hidden_group_size_x
      - .offset:         3406
        .size:           2
        .value_kind:     hidden_group_size_y
      - .offset:         3408
        .size:           2
        .value_kind:     hidden_group_size_z
      - .offset:         3410
        .size:           2
        .value_kind:     hidden_remainder_x
      - .offset:         3412
        .size:           2
        .value_kind:     hidden_remainder_y
      - .offset:         3414
        .size:           2
        .value_kind:     hidden_remainder_z
      - .offset:         3432
        .size:           8
        .value_kind:     hidden_global_offset_x
      - .offset:         3440
        .size:           8
        .value_kind:     hidden_global_offset_y
      - .offset:         3448
        .size:           8
        .value_kind:     hidden_global_offset_z
      - .offset:         3456
        .size:           2
        .value_kind:     hidden_grid_dims
    .group_segment_fixed_size: 0
    .kernarg_segment_align: 8
    .kernarg_segment_size: 3648
    .language:       OpenCL C
    .language_version:
      - 2
      - 0
    .max_flat_workgroup_size: 512
    .name:           _ZN2at6native12_GLOBAL__N_125multi_tensor_apply_kernelINS1_18TensorListMetadataILi1EEENS1_27BinaryOpScalarTensorFunctorIfLi1ELi1ELi0EEEJSt4plusIfEPffEEEvT_T0_DpT1_
    .private_segment_fixed_size: 0
    .sgpr_count:     35
    .sgpr_spill_count: 0
    .symbol:         _ZN2at6native12_GLOBAL__N_125multi_tensor_apply_kernelINS1_18TensorListMetadataILi1EEENS1_27BinaryOpScalarTensorFunctorIfLi1ELi1ELi0EEEJSt4plusIfEPffEEEvT_T0_DpT1_.kd
    .uniform_work_group_size: 1
    .uses_dynamic_stack: false
    .vgpr_count:     22
    .vgpr_spill_count: 0
    .wavefront_size: 64
  - .agpr_count:     0
    .args:
      - .offset:         0
        .size:           3368
        .value_kind:     by_value
      - .offset:         3368
        .size:           1
        .value_kind:     by_value
      - .offset:         3369
        .size:           1
        .value_kind:     by_value
      - .address_space:  global
        .offset:         3376
        .size:           8
        .value_kind:     global_buffer
      - .offset:         3392
        .size:           16
        .value_kind:     by_value
      - .offset:         3408
        .size:           4
        .value_kind:     hidden_block_count_x
      - .offset:         3412
        .size:           4
        .value_kind:     hidden_block_count_y
      - .offset:         3416
        .size:           4
        .value_kind:     hidden_block_count_z
      - .offset:         3420
        .size:           2
        .value_kind:     hidden_group_size_x
      - .offset:         3422
        .size:           2
        .value_kind:     hidden_group_size_y
      - .offset:         3424
        .size:           2
        .value_kind:     hidden_group_size_z
      - .offset:         3426
        .size:           2
        .value_kind:     hidden_remainder_x
      - .offset:         3428
        .size:           2
        .value_kind:     hidden_remainder_y
      - .offset:         3430
        .size:           2
        .value_kind:     hidden_remainder_z
      - .offset:         3448
        .size:           8
        .value_kind:     hidden_global_offset_x
      - .offset:         3456
        .size:           8
        .value_kind:     hidden_global_offset_y
      - .offset:         3464
        .size:           8
        .value_kind:     hidden_global_offset_z
      - .offset:         3472
        .size:           2
        .value_kind:     hidden_grid_dims
    .group_segment_fixed_size: 0
    .kernarg_segment_align: 16
    .kernarg_segment_size: 3664
    .language:       OpenCL C
    .language_version:
      - 2
      - 0
    .max_flat_workgroup_size: 512
    .name:           _ZN2at6native12_GLOBAL__N_125multi_tensor_apply_kernelINS1_18TensorListMetadataILi1EEENS1_27BinaryOpScalarTensorFunctorIN3c107complexIdEELi1ELi1ELi0EEEJSt4plusIS8_EPS8_S8_EEEvT_T0_DpT1_
    .private_segment_fixed_size: 0
    .sgpr_count:     36
    .sgpr_spill_count: 0
    .symbol:         _ZN2at6native12_GLOBAL__N_125multi_tensor_apply_kernelINS1_18TensorListMetadataILi1EEENS1_27BinaryOpScalarTensorFunctorIN3c107complexIdEELi1ELi1ELi0EEEJSt4plusIS8_EPS8_S8_EEEvT_T0_DpT1_.kd
    .uniform_work_group_size: 1
    .uses_dynamic_stack: false
    .vgpr_count:     38
    .vgpr_spill_count: 0
    .wavefront_size: 64
  - .agpr_count:     0
    .args:
      - .offset:         0
        .size:           3368
        .value_kind:     by_value
      - .offset:         3368
        .size:           1
        .value_kind:     by_value
      - .offset:         3369
        .size:           1
        .value_kind:     by_value
      - .address_space:  global
        .offset:         3376
        .size:           8
        .value_kind:     global_buffer
      - .offset:         3384
        .size:           8
        .value_kind:     by_value
      - .offset:         3392
        .size:           4
        .value_kind:     hidden_block_count_x
      - .offset:         3396
        .size:           4
        .value_kind:     hidden_block_count_y
      - .offset:         3400
        .size:           4
        .value_kind:     hidden_block_count_z
      - .offset:         3404
        .size:           2
        .value_kind:     hidden_group_size_x
      - .offset:         3406
        .size:           2
        .value_kind:     hidden_group_size_y
      - .offset:         3408
        .size:           2
        .value_kind:     hidden_group_size_z
      - .offset:         3410
        .size:           2
        .value_kind:     hidden_remainder_x
      - .offset:         3412
        .size:           2
        .value_kind:     hidden_remainder_y
      - .offset:         3414
        .size:           2
        .value_kind:     hidden_remainder_z
      - .offset:         3432
        .size:           8
        .value_kind:     hidden_global_offset_x
      - .offset:         3440
        .size:           8
        .value_kind:     hidden_global_offset_y
      - .offset:         3448
        .size:           8
        .value_kind:     hidden_global_offset_z
      - .offset:         3456
        .size:           2
        .value_kind:     hidden_grid_dims
    .group_segment_fixed_size: 0
    .kernarg_segment_align: 8
    .kernarg_segment_size: 3648
    .language:       OpenCL C
    .language_version:
      - 2
      - 0
    .max_flat_workgroup_size: 512
    .name:           _ZN2at6native12_GLOBAL__N_125multi_tensor_apply_kernelINS1_18TensorListMetadataILi1EEENS1_27BinaryOpScalarTensorFunctorIN3c107complexIfEELi1ELi1ELi0EEEJSt4plusIS8_EPS8_S8_EEEvT_T0_DpT1_
    .private_segment_fixed_size: 0
    .sgpr_count:     41
    .sgpr_spill_count: 0
    .symbol:         _ZN2at6native12_GLOBAL__N_125multi_tensor_apply_kernelINS1_18TensorListMetadataILi1EEENS1_27BinaryOpScalarTensorFunctorIN3c107complexIfEELi1ELi1ELi0EEEJSt4plusIS8_EPS8_S8_EEEvT_T0_DpT1_.kd
    .uniform_work_group_size: 1
    .uses_dynamic_stack: false
    .vgpr_count:     30
    .vgpr_spill_count: 0
    .wavefront_size: 64
  - .agpr_count:     0
    .args:
      - .offset:         0
        .size:           3368
        .value_kind:     by_value
      - .offset:         3368
        .size:           1
        .value_kind:     by_value
      - .offset:         3369
        .size:           1
        .value_kind:     by_value
      - .address_space:  global
        .offset:         3376
        .size:           8
        .value_kind:     global_buffer
      - .offset:         3384
        .size:           1
        .value_kind:     by_value
      - .offset:         3392
        .size:           4
        .value_kind:     hidden_block_count_x
      - .offset:         3396
        .size:           4
        .value_kind:     hidden_block_count_y
      - .offset:         3400
        .size:           4
        .value_kind:     hidden_block_count_z
      - .offset:         3404
        .size:           2
        .value_kind:     hidden_group_size_x
      - .offset:         3406
        .size:           2
        .value_kind:     hidden_group_size_y
      - .offset:         3408
        .size:           2
        .value_kind:     hidden_group_size_z
      - .offset:         3410
        .size:           2
        .value_kind:     hidden_remainder_x
      - .offset:         3412
        .size:           2
        .value_kind:     hidden_remainder_y
      - .offset:         3414
        .size:           2
        .value_kind:     hidden_remainder_z
      - .offset:         3432
        .size:           8
        .value_kind:     hidden_global_offset_x
      - .offset:         3440
        .size:           8
        .value_kind:     hidden_global_offset_y
      - .offset:         3448
        .size:           8
        .value_kind:     hidden_global_offset_z
      - .offset:         3456
        .size:           2
        .value_kind:     hidden_grid_dims
    .group_segment_fixed_size: 0
    .kernarg_segment_align: 8
    .kernarg_segment_size: 3648
    .language:       OpenCL C
    .language_version:
      - 2
      - 0
    .max_flat_workgroup_size: 512
    .name:           _ZN2at6native12_GLOBAL__N_125multi_tensor_apply_kernelINS1_18TensorListMetadataILi1EEENS1_27BinaryOpScalarTensorFunctorIbLi1ELi1ELi0EEEJSt4plusIbEPbbEEEvT_T0_DpT1_
    .private_segment_fixed_size: 0
    .sgpr_count:     29
    .sgpr_spill_count: 0
    .symbol:         _ZN2at6native12_GLOBAL__N_125multi_tensor_apply_kernelINS1_18TensorListMetadataILi1EEENS1_27BinaryOpScalarTensorFunctorIbLi1ELi1ELi0EEEJSt4plusIbEPbbEEEvT_T0_DpT1_.kd
    .uniform_work_group_size: 1
    .uses_dynamic_stack: false
    .vgpr_count:     28
    .vgpr_spill_count: 0
    .wavefront_size: 64
  - .agpr_count:     0
    .args:
      - .offset:         0
        .size:           3368
        .value_kind:     by_value
      - .offset:         3368
        .size:           1
        .value_kind:     by_value
      - .offset:         3369
        .size:           1
        .value_kind:     by_value
      - .address_space:  global
        .offset:         3376
        .size:           8
        .value_kind:     global_buffer
      - .offset:         3384
        .size:           4
        .value_kind:     by_value
      - .offset:         3392
        .size:           4
        .value_kind:     hidden_block_count_x
      - .offset:         3396
        .size:           4
        .value_kind:     hidden_block_count_y
      - .offset:         3400
        .size:           4
        .value_kind:     hidden_block_count_z
      - .offset:         3404
        .size:           2
        .value_kind:     hidden_group_size_x
      - .offset:         3406
        .size:           2
        .value_kind:     hidden_group_size_y
      - .offset:         3408
        .size:           2
        .value_kind:     hidden_group_size_z
      - .offset:         3410
        .size:           2
        .value_kind:     hidden_remainder_x
      - .offset:         3412
        .size:           2
        .value_kind:     hidden_remainder_y
      - .offset:         3414
        .size:           2
        .value_kind:     hidden_remainder_z
      - .offset:         3432
        .size:           8
        .value_kind:     hidden_global_offset_x
      - .offset:         3440
        .size:           8
        .value_kind:     hidden_global_offset_y
      - .offset:         3448
        .size:           8
        .value_kind:     hidden_global_offset_z
      - .offset:         3456
        .size:           2
        .value_kind:     hidden_grid_dims
    .group_segment_fixed_size: 0
    .kernarg_segment_align: 8
    .kernarg_segment_size: 3648
    .language:       OpenCL C
    .language_version:
      - 2
      - 0
    .max_flat_workgroup_size: 512
    .name:           _ZN2at6native12_GLOBAL__N_125multi_tensor_apply_kernelINS1_18TensorListMetadataILi1EEENS1_27BinaryOpScalarTensorFunctorIN3c104HalfELi1ELi1ELi0EEEJSt4plusIfEPS7_fEEEvT_T0_DpT1_
    .private_segment_fixed_size: 0
    .sgpr_count:     34
    .sgpr_spill_count: 0
    .symbol:         _ZN2at6native12_GLOBAL__N_125multi_tensor_apply_kernelINS1_18TensorListMetadataILi1EEENS1_27BinaryOpScalarTensorFunctorIN3c104HalfELi1ELi1ELi0EEEJSt4plusIfEPS7_fEEEvT_T0_DpT1_.kd
    .uniform_work_group_size: 1
    .uses_dynamic_stack: false
    .vgpr_count:     22
    .vgpr_spill_count: 0
    .wavefront_size: 64
  - .agpr_count:     0
    .args:
      - .offset:         0
        .size:           3368
        .value_kind:     by_value
      - .offset:         3368
        .size:           1
        .value_kind:     by_value
      - .offset:         3369
        .size:           1
        .value_kind:     by_value
      - .address_space:  global
        .offset:         3376
        .size:           8
        .value_kind:     global_buffer
      - .offset:         3384
        .size:           4
        .value_kind:     by_value
      - .offset:         3392
        .size:           4
        .value_kind:     hidden_block_count_x
      - .offset:         3396
        .size:           4
        .value_kind:     hidden_block_count_y
      - .offset:         3400
        .size:           4
        .value_kind:     hidden_block_count_z
      - .offset:         3404
        .size:           2
        .value_kind:     hidden_group_size_x
      - .offset:         3406
        .size:           2
        .value_kind:     hidden_group_size_y
      - .offset:         3408
        .size:           2
        .value_kind:     hidden_group_size_z
      - .offset:         3410
        .size:           2
        .value_kind:     hidden_remainder_x
      - .offset:         3412
        .size:           2
        .value_kind:     hidden_remainder_y
      - .offset:         3414
        .size:           2
        .value_kind:     hidden_remainder_z
      - .offset:         3432
        .size:           8
        .value_kind:     hidden_global_offset_x
      - .offset:         3440
        .size:           8
        .value_kind:     hidden_global_offset_y
      - .offset:         3448
        .size:           8
        .value_kind:     hidden_global_offset_z
      - .offset:         3456
        .size:           2
        .value_kind:     hidden_grid_dims
    .group_segment_fixed_size: 0
    .kernarg_segment_align: 8
    .kernarg_segment_size: 3648
    .language:       OpenCL C
    .language_version:
      - 2
      - 0
    .max_flat_workgroup_size: 512
    .name:           _ZN2at6native12_GLOBAL__N_125multi_tensor_apply_kernelINS1_18TensorListMetadataILi1EEENS1_27BinaryOpScalarTensorFunctorIN3c108BFloat16ELi1ELi1ELi0EEEJSt4plusIfEPS7_fEEEvT_T0_DpT1_
    .private_segment_fixed_size: 0
    .sgpr_count:     35
    .sgpr_spill_count: 0
    .symbol:         _ZN2at6native12_GLOBAL__N_125multi_tensor_apply_kernelINS1_18TensorListMetadataILi1EEENS1_27BinaryOpScalarTensorFunctorIN3c108BFloat16ELi1ELi1ELi0EEEJSt4plusIfEPS7_fEEEvT_T0_DpT1_.kd
    .uniform_work_group_size: 1
    .uses_dynamic_stack: false
    .vgpr_count:     24
    .vgpr_spill_count: 0
    .wavefront_size: 64
  - .agpr_count:     0
    .args:
      - .offset:         0
        .size:           3144
        .value_kind:     by_value
      - .offset:         3144
        .size:           1
        .value_kind:     by_value
      - .offset:         3145
        .size:           1
        .value_kind:     by_value
      - .address_space:  global
        .offset:         3152
        .size:           8
        .value_kind:     global_buffer
      - .offset:         3160
        .size:           1
        .value_kind:     by_value
      - .offset:         3168
        .size:           4
        .value_kind:     hidden_block_count_x
      - .offset:         3172
        .size:           4
        .value_kind:     hidden_block_count_y
      - .offset:         3176
        .size:           4
        .value_kind:     hidden_block_count_z
      - .offset:         3180
        .size:           2
        .value_kind:     hidden_group_size_x
      - .offset:         3182
        .size:           2
        .value_kind:     hidden_group_size_y
      - .offset:         3184
        .size:           2
        .value_kind:     hidden_group_size_z
      - .offset:         3186
        .size:           2
        .value_kind:     hidden_remainder_x
      - .offset:         3188
        .size:           2
        .value_kind:     hidden_remainder_y
      - .offset:         3190
        .size:           2
        .value_kind:     hidden_remainder_z
      - .offset:         3208
        .size:           8
        .value_kind:     hidden_global_offset_x
      - .offset:         3216
        .size:           8
        .value_kind:     hidden_global_offset_y
      - .offset:         3224
        .size:           8
        .value_kind:     hidden_global_offset_z
      - .offset:         3232
        .size:           2
        .value_kind:     hidden_grid_dims
    .group_segment_fixed_size: 0
    .kernarg_segment_align: 8
    .kernarg_segment_size: 3424
    .language:       OpenCL C
    .language_version:
      - 2
      - 0
    .max_flat_workgroup_size: 512
    .name:           _ZN2at6native12_GLOBAL__N_125multi_tensor_apply_kernelINS1_18TensorListMetadataILi2EEENS1_27BinaryOpScalarTensorFunctorIhLi2ELi1ELi1EEEJSt4plusIhEPhhEEEvT_T0_DpT1_
    .private_segment_fixed_size: 0
    .sgpr_count:     29
    .sgpr_spill_count: 0
    .symbol:         _ZN2at6native12_GLOBAL__N_125multi_tensor_apply_kernelINS1_18TensorListMetadataILi2EEENS1_27BinaryOpScalarTensorFunctorIhLi2ELi1ELi1EEEJSt4plusIhEPhhEEEvT_T0_DpT1_.kd
    .uniform_work_group_size: 1
    .uses_dynamic_stack: false
    .vgpr_count:     34
    .vgpr_spill_count: 0
    .wavefront_size: 64
  - .agpr_count:     0
    .args:
      - .offset:         0
        .size:           3144
        .value_kind:     by_value
      - .offset:         3144
        .size:           1
        .value_kind:     by_value
      - .offset:         3145
        .size:           1
        .value_kind:     by_value
      - .address_space:  global
        .offset:         3152
        .size:           8
        .value_kind:     global_buffer
      - .offset:         3160
        .size:           1
        .value_kind:     by_value
      - .offset:         3168
        .size:           4
        .value_kind:     hidden_block_count_x
      - .offset:         3172
        .size:           4
        .value_kind:     hidden_block_count_y
      - .offset:         3176
        .size:           4
        .value_kind:     hidden_block_count_z
      - .offset:         3180
        .size:           2
        .value_kind:     hidden_group_size_x
      - .offset:         3182
        .size:           2
        .value_kind:     hidden_group_size_y
      - .offset:         3184
        .size:           2
        .value_kind:     hidden_group_size_z
      - .offset:         3186
        .size:           2
        .value_kind:     hidden_remainder_x
      - .offset:         3188
        .size:           2
        .value_kind:     hidden_remainder_y
      - .offset:         3190
        .size:           2
        .value_kind:     hidden_remainder_z
      - .offset:         3208
        .size:           8
        .value_kind:     hidden_global_offset_x
      - .offset:         3216
        .size:           8
        .value_kind:     hidden_global_offset_y
      - .offset:         3224
        .size:           8
        .value_kind:     hidden_global_offset_z
      - .offset:         3232
        .size:           2
        .value_kind:     hidden_grid_dims
    .group_segment_fixed_size: 0
    .kernarg_segment_align: 8
    .kernarg_segment_size: 3424
    .language:       OpenCL C
    .language_version:
      - 2
      - 0
    .max_flat_workgroup_size: 512
    .name:           _ZN2at6native12_GLOBAL__N_125multi_tensor_apply_kernelINS1_18TensorListMetadataILi2EEENS1_27BinaryOpScalarTensorFunctorIaLi2ELi1ELi1EEEJSt4plusIaEPaaEEEvT_T0_DpT1_
    .private_segment_fixed_size: 0
    .sgpr_count:     29
    .sgpr_spill_count: 0
    .symbol:         _ZN2at6native12_GLOBAL__N_125multi_tensor_apply_kernelINS1_18TensorListMetadataILi2EEENS1_27BinaryOpScalarTensorFunctorIaLi2ELi1ELi1EEEJSt4plusIaEPaaEEEvT_T0_DpT1_.kd
    .uniform_work_group_size: 1
    .uses_dynamic_stack: false
    .vgpr_count:     34
    .vgpr_spill_count: 0
    .wavefront_size: 64
  - .agpr_count:     0
    .args:
      - .offset:         0
        .size:           3144
        .value_kind:     by_value
      - .offset:         3144
        .size:           1
        .value_kind:     by_value
      - .offset:         3145
        .size:           1
        .value_kind:     by_value
      - .address_space:  global
        .offset:         3152
        .size:           8
        .value_kind:     global_buffer
      - .offset:         3160
        .size:           4
        .value_kind:     by_value
      - .offset:         3168
        .size:           4
        .value_kind:     hidden_block_count_x
      - .offset:         3172
        .size:           4
        .value_kind:     hidden_block_count_y
      - .offset:         3176
        .size:           4
        .value_kind:     hidden_block_count_z
      - .offset:         3180
        .size:           2
        .value_kind:     hidden_group_size_x
      - .offset:         3182
        .size:           2
        .value_kind:     hidden_group_size_y
      - .offset:         3184
        .size:           2
        .value_kind:     hidden_group_size_z
      - .offset:         3186
        .size:           2
        .value_kind:     hidden_remainder_x
      - .offset:         3188
        .size:           2
        .value_kind:     hidden_remainder_y
      - .offset:         3190
        .size:           2
        .value_kind:     hidden_remainder_z
      - .offset:         3208
        .size:           8
        .value_kind:     hidden_global_offset_x
      - .offset:         3216
        .size:           8
        .value_kind:     hidden_global_offset_y
      - .offset:         3224
        .size:           8
        .value_kind:     hidden_global_offset_z
      - .offset:         3232
        .size:           2
        .value_kind:     hidden_grid_dims
    .group_segment_fixed_size: 0
    .kernarg_segment_align: 8
    .kernarg_segment_size: 3424
    .language:       OpenCL C
    .language_version:
      - 2
      - 0
    .max_flat_workgroup_size: 512
    .name:           _ZN2at6native12_GLOBAL__N_125multi_tensor_apply_kernelINS1_18TensorListMetadataILi2EEENS1_27BinaryOpScalarTensorFunctorIiLi2ELi1ELi1EEEJSt4plusIiEPiiEEEvT_T0_DpT1_
    .private_segment_fixed_size: 0
    .sgpr_count:     29
    .sgpr_spill_count: 0
    .symbol:         _ZN2at6native12_GLOBAL__N_125multi_tensor_apply_kernelINS1_18TensorListMetadataILi2EEENS1_27BinaryOpScalarTensorFunctorIiLi2ELi1ELi1EEEJSt4plusIiEPiiEEEvT_T0_DpT1_.kd
    .uniform_work_group_size: 1
    .uses_dynamic_stack: false
    .vgpr_count:     32
    .vgpr_spill_count: 0
    .wavefront_size: 64
  - .agpr_count:     0
    .args:
      - .offset:         0
        .size:           3144
        .value_kind:     by_value
      - .offset:         3144
        .size:           1
        .value_kind:     by_value
      - .offset:         3145
        .size:           1
        .value_kind:     by_value
      - .address_space:  global
        .offset:         3152
        .size:           8
        .value_kind:     global_buffer
      - .offset:         3160
        .size:           8
        .value_kind:     by_value
      - .offset:         3168
        .size:           4
        .value_kind:     hidden_block_count_x
      - .offset:         3172
        .size:           4
        .value_kind:     hidden_block_count_y
      - .offset:         3176
        .size:           4
        .value_kind:     hidden_block_count_z
      - .offset:         3180
        .size:           2
        .value_kind:     hidden_group_size_x
      - .offset:         3182
        .size:           2
        .value_kind:     hidden_group_size_y
      - .offset:         3184
        .size:           2
        .value_kind:     hidden_group_size_z
      - .offset:         3186
        .size:           2
        .value_kind:     hidden_remainder_x
      - .offset:         3188
        .size:           2
        .value_kind:     hidden_remainder_y
      - .offset:         3190
        .size:           2
        .value_kind:     hidden_remainder_z
      - .offset:         3208
        .size:           8
        .value_kind:     hidden_global_offset_x
      - .offset:         3216
        .size:           8
        .value_kind:     hidden_global_offset_y
      - .offset:         3224
        .size:           8
        .value_kind:     hidden_global_offset_z
      - .offset:         3232
        .size:           2
        .value_kind:     hidden_grid_dims
    .group_segment_fixed_size: 0
    .kernarg_segment_align: 8
    .kernarg_segment_size: 3424
    .language:       OpenCL C
    .language_version:
      - 2
      - 0
    .max_flat_workgroup_size: 512
    .name:           _ZN2at6native12_GLOBAL__N_125multi_tensor_apply_kernelINS1_18TensorListMetadataILi2EEENS1_27BinaryOpScalarTensorFunctorIlLi2ELi1ELi1EEEJSt4plusIlEPllEEEvT_T0_DpT1_
    .private_segment_fixed_size: 0
    .sgpr_count:     34
    .sgpr_spill_count: 0
    .symbol:         _ZN2at6native12_GLOBAL__N_125multi_tensor_apply_kernelINS1_18TensorListMetadataILi2EEENS1_27BinaryOpScalarTensorFunctorIlLi2ELi1ELi1EEEJSt4plusIlEPllEEEvT_T0_DpT1_.kd
    .uniform_work_group_size: 1
    .uses_dynamic_stack: false
    .vgpr_count:     36
    .vgpr_spill_count: 0
    .wavefront_size: 64
  - .agpr_count:     0
    .args:
      - .offset:         0
        .size:           3144
        .value_kind:     by_value
      - .offset:         3144
        .size:           1
        .value_kind:     by_value
      - .offset:         3145
        .size:           1
        .value_kind:     by_value
      - .address_space:  global
        .offset:         3152
        .size:           8
        .value_kind:     global_buffer
      - .offset:         3160
        .size:           2
        .value_kind:     by_value
      - .offset:         3168
        .size:           4
        .value_kind:     hidden_block_count_x
      - .offset:         3172
        .size:           4
        .value_kind:     hidden_block_count_y
      - .offset:         3176
        .size:           4
        .value_kind:     hidden_block_count_z
      - .offset:         3180
        .size:           2
        .value_kind:     hidden_group_size_x
      - .offset:         3182
        .size:           2
        .value_kind:     hidden_group_size_y
      - .offset:         3184
        .size:           2
        .value_kind:     hidden_group_size_z
      - .offset:         3186
        .size:           2
        .value_kind:     hidden_remainder_x
      - .offset:         3188
        .size:           2
        .value_kind:     hidden_remainder_y
      - .offset:         3190
        .size:           2
        .value_kind:     hidden_remainder_z
      - .offset:         3208
        .size:           8
        .value_kind:     hidden_global_offset_x
      - .offset:         3216
        .size:           8
        .value_kind:     hidden_global_offset_y
      - .offset:         3224
        .size:           8
        .value_kind:     hidden_global_offset_z
      - .offset:         3232
        .size:           2
        .value_kind:     hidden_grid_dims
    .group_segment_fixed_size: 0
    .kernarg_segment_align: 8
    .kernarg_segment_size: 3424
    .language:       OpenCL C
    .language_version:
      - 2
      - 0
    .max_flat_workgroup_size: 512
    .name:           _ZN2at6native12_GLOBAL__N_125multi_tensor_apply_kernelINS1_18TensorListMetadataILi2EEENS1_27BinaryOpScalarTensorFunctorIsLi2ELi1ELi1EEEJSt4plusIsEPssEEEvT_T0_DpT1_
    .private_segment_fixed_size: 0
    .sgpr_count:     30
    .sgpr_spill_count: 0
    .symbol:         _ZN2at6native12_GLOBAL__N_125multi_tensor_apply_kernelINS1_18TensorListMetadataILi2EEENS1_27BinaryOpScalarTensorFunctorIsLi2ELi1ELi1EEEJSt4plusIsEPssEEEvT_T0_DpT1_.kd
    .uniform_work_group_size: 1
    .uses_dynamic_stack: false
    .vgpr_count:     32
    .vgpr_spill_count: 0
    .wavefront_size: 64
  - .agpr_count:     0
    .args:
      - .offset:         0
        .size:           3144
        .value_kind:     by_value
      - .offset:         3144
        .size:           1
        .value_kind:     by_value
      - .offset:         3145
        .size:           1
        .value_kind:     by_value
      - .address_space:  global
        .offset:         3152
        .size:           8
        .value_kind:     global_buffer
      - .offset:         3160
        .size:           8
        .value_kind:     by_value
      - .offset:         3168
        .size:           4
        .value_kind:     hidden_block_count_x
      - .offset:         3172
        .size:           4
        .value_kind:     hidden_block_count_y
      - .offset:         3176
        .size:           4
        .value_kind:     hidden_block_count_z
      - .offset:         3180
        .size:           2
        .value_kind:     hidden_group_size_x
      - .offset:         3182
        .size:           2
        .value_kind:     hidden_group_size_y
      - .offset:         3184
        .size:           2
        .value_kind:     hidden_group_size_z
      - .offset:         3186
        .size:           2
        .value_kind:     hidden_remainder_x
      - .offset:         3188
        .size:           2
        .value_kind:     hidden_remainder_y
      - .offset:         3190
        .size:           2
        .value_kind:     hidden_remainder_z
      - .offset:         3208
        .size:           8
        .value_kind:     hidden_global_offset_x
      - .offset:         3216
        .size:           8
        .value_kind:     hidden_global_offset_y
      - .offset:         3224
        .size:           8
        .value_kind:     hidden_global_offset_z
      - .offset:         3232
        .size:           2
        .value_kind:     hidden_grid_dims
    .group_segment_fixed_size: 0
    .kernarg_segment_align: 8
    .kernarg_segment_size: 3424
    .language:       OpenCL C
    .language_version:
      - 2
      - 0
    .max_flat_workgroup_size: 512
    .name:           _ZN2at6native12_GLOBAL__N_125multi_tensor_apply_kernelINS1_18TensorListMetadataILi2EEENS1_27BinaryOpScalarTensorFunctorIdLi2ELi1ELi1EEEJSt4plusIdEPddEEEvT_T0_DpT1_
    .private_segment_fixed_size: 0
    .sgpr_count:     34
    .sgpr_spill_count: 0
    .symbol:         _ZN2at6native12_GLOBAL__N_125multi_tensor_apply_kernelINS1_18TensorListMetadataILi2EEENS1_27BinaryOpScalarTensorFunctorIdLi2ELi1ELi1EEEJSt4plusIdEPddEEEvT_T0_DpT1_.kd
    .uniform_work_group_size: 1
    .uses_dynamic_stack: false
    .vgpr_count:     36
    .vgpr_spill_count: 0
    .wavefront_size: 64
  - .agpr_count:     0
    .args:
      - .offset:         0
        .size:           3144
        .value_kind:     by_value
      - .offset:         3144
        .size:           1
        .value_kind:     by_value
      - .offset:         3145
        .size:           1
        .value_kind:     by_value
      - .address_space:  global
        .offset:         3152
        .size:           8
        .value_kind:     global_buffer
      - .offset:         3160
        .size:           4
        .value_kind:     by_value
      - .offset:         3168
        .size:           4
        .value_kind:     hidden_block_count_x
      - .offset:         3172
        .size:           4
        .value_kind:     hidden_block_count_y
      - .offset:         3176
        .size:           4
        .value_kind:     hidden_block_count_z
      - .offset:         3180
        .size:           2
        .value_kind:     hidden_group_size_x
      - .offset:         3182
        .size:           2
        .value_kind:     hidden_group_size_y
      - .offset:         3184
        .size:           2
        .value_kind:     hidden_group_size_z
      - .offset:         3186
        .size:           2
        .value_kind:     hidden_remainder_x
      - .offset:         3188
        .size:           2
        .value_kind:     hidden_remainder_y
      - .offset:         3190
        .size:           2
        .value_kind:     hidden_remainder_z
      - .offset:         3208
        .size:           8
        .value_kind:     hidden_global_offset_x
      - .offset:         3216
        .size:           8
        .value_kind:     hidden_global_offset_y
      - .offset:         3224
        .size:           8
        .value_kind:     hidden_global_offset_z
      - .offset:         3232
        .size:           2
        .value_kind:     hidden_grid_dims
    .group_segment_fixed_size: 0
    .kernarg_segment_align: 8
    .kernarg_segment_size: 3424
    .language:       OpenCL C
    .language_version:
      - 2
      - 0
    .max_flat_workgroup_size: 512
    .name:           _ZN2at6native12_GLOBAL__N_125multi_tensor_apply_kernelINS1_18TensorListMetadataILi2EEENS1_27BinaryOpScalarTensorFunctorIfLi2ELi1ELi1EEEJSt4plusIfEPffEEEvT_T0_DpT1_
    .private_segment_fixed_size: 0
    .sgpr_count:     29
    .sgpr_spill_count: 0
    .symbol:         _ZN2at6native12_GLOBAL__N_125multi_tensor_apply_kernelINS1_18TensorListMetadataILi2EEENS1_27BinaryOpScalarTensorFunctorIfLi2ELi1ELi1EEEJSt4plusIfEPffEEEvT_T0_DpT1_.kd
    .uniform_work_group_size: 1
    .uses_dynamic_stack: false
    .vgpr_count:     32
    .vgpr_spill_count: 0
    .wavefront_size: 64
  - .agpr_count:     0
    .args:
      - .offset:         0
        .size:           3144
        .value_kind:     by_value
      - .offset:         3144
        .size:           1
        .value_kind:     by_value
      - .offset:         3145
        .size:           1
        .value_kind:     by_value
      - .address_space:  global
        .offset:         3152
        .size:           8
        .value_kind:     global_buffer
      - .offset:         3168
        .size:           16
        .value_kind:     by_value
      - .offset:         3184
        .size:           4
        .value_kind:     hidden_block_count_x
      - .offset:         3188
        .size:           4
        .value_kind:     hidden_block_count_y
      - .offset:         3192
        .size:           4
        .value_kind:     hidden_block_count_z
      - .offset:         3196
        .size:           2
        .value_kind:     hidden_group_size_x
      - .offset:         3198
        .size:           2
        .value_kind:     hidden_group_size_y
      - .offset:         3200
        .size:           2
        .value_kind:     hidden_group_size_z
      - .offset:         3202
        .size:           2
        .value_kind:     hidden_remainder_x
      - .offset:         3204
        .size:           2
        .value_kind:     hidden_remainder_y
      - .offset:         3206
        .size:           2
        .value_kind:     hidden_remainder_z
      - .offset:         3224
        .size:           8
        .value_kind:     hidden_global_offset_x
      - .offset:         3232
        .size:           8
        .value_kind:     hidden_global_offset_y
      - .offset:         3240
        .size:           8
        .value_kind:     hidden_global_offset_z
      - .offset:         3248
        .size:           2
        .value_kind:     hidden_grid_dims
    .group_segment_fixed_size: 0
    .kernarg_segment_align: 16
    .kernarg_segment_size: 3440
    .language:       OpenCL C
    .language_version:
      - 2
      - 0
    .max_flat_workgroup_size: 512
    .name:           _ZN2at6native12_GLOBAL__N_125multi_tensor_apply_kernelINS1_18TensorListMetadataILi2EEENS1_27BinaryOpScalarTensorFunctorIN3c107complexIdEELi2ELi1ELi1EEEJSt4plusIS8_EPS8_S8_EEEvT_T0_DpT1_
    .private_segment_fixed_size: 0
    .sgpr_count:     39
    .sgpr_spill_count: 0
    .symbol:         _ZN2at6native12_GLOBAL__N_125multi_tensor_apply_kernelINS1_18TensorListMetadataILi2EEENS1_27BinaryOpScalarTensorFunctorIN3c107complexIdEELi2ELi1ELi1EEEJSt4plusIS8_EPS8_S8_EEEvT_T0_DpT1_.kd
    .uniform_work_group_size: 1
    .uses_dynamic_stack: false
    .vgpr_count:     44
    .vgpr_spill_count: 0
    .wavefront_size: 64
  - .agpr_count:     0
    .args:
      - .offset:         0
        .size:           3144
        .value_kind:     by_value
      - .offset:         3144
        .size:           1
        .value_kind:     by_value
      - .offset:         3145
        .size:           1
        .value_kind:     by_value
      - .address_space:  global
        .offset:         3152
        .size:           8
        .value_kind:     global_buffer
      - .offset:         3160
        .size:           8
        .value_kind:     by_value
      - .offset:         3168
        .size:           4
        .value_kind:     hidden_block_count_x
      - .offset:         3172
        .size:           4
        .value_kind:     hidden_block_count_y
      - .offset:         3176
        .size:           4
        .value_kind:     hidden_block_count_z
      - .offset:         3180
        .size:           2
        .value_kind:     hidden_group_size_x
      - .offset:         3182
        .size:           2
        .value_kind:     hidden_group_size_y
      - .offset:         3184
        .size:           2
        .value_kind:     hidden_group_size_z
      - .offset:         3186
        .size:           2
        .value_kind:     hidden_remainder_x
      - .offset:         3188
        .size:           2
        .value_kind:     hidden_remainder_y
      - .offset:         3190
        .size:           2
        .value_kind:     hidden_remainder_z
      - .offset:         3208
        .size:           8
        .value_kind:     hidden_global_offset_x
      - .offset:         3216
        .size:           8
        .value_kind:     hidden_global_offset_y
      - .offset:         3224
        .size:           8
        .value_kind:     hidden_global_offset_z
      - .offset:         3232
        .size:           2
        .value_kind:     hidden_grid_dims
    .group_segment_fixed_size: 0
    .kernarg_segment_align: 8
    .kernarg_segment_size: 3424
    .language:       OpenCL C
    .language_version:
      - 2
      - 0
    .max_flat_workgroup_size: 512
    .name:           _ZN2at6native12_GLOBAL__N_125multi_tensor_apply_kernelINS1_18TensorListMetadataILi2EEENS1_27BinaryOpScalarTensorFunctorIN3c107complexIfEELi2ELi1ELi1EEEJSt4plusIS8_EPS8_S8_EEEvT_T0_DpT1_
    .private_segment_fixed_size: 0
    .sgpr_count:     39
    .sgpr_spill_count: 0
    .symbol:         _ZN2at6native12_GLOBAL__N_125multi_tensor_apply_kernelINS1_18TensorListMetadataILi2EEENS1_27BinaryOpScalarTensorFunctorIN3c107complexIfEELi2ELi1ELi1EEEJSt4plusIS8_EPS8_S8_EEEvT_T0_DpT1_.kd
    .uniform_work_group_size: 1
    .uses_dynamic_stack: false
    .vgpr_count:     38
    .vgpr_spill_count: 0
    .wavefront_size: 64
  - .agpr_count:     0
    .args:
      - .offset:         0
        .size:           3144
        .value_kind:     by_value
      - .offset:         3144
        .size:           1
        .value_kind:     by_value
      - .offset:         3145
        .size:           1
        .value_kind:     by_value
      - .address_space:  global
        .offset:         3152
        .size:           8
        .value_kind:     global_buffer
      - .offset:         3160
        .size:           1
        .value_kind:     by_value
      - .offset:         3168
        .size:           4
        .value_kind:     hidden_block_count_x
      - .offset:         3172
        .size:           4
        .value_kind:     hidden_block_count_y
      - .offset:         3176
        .size:           4
        .value_kind:     hidden_block_count_z
      - .offset:         3180
        .size:           2
        .value_kind:     hidden_group_size_x
      - .offset:         3182
        .size:           2
        .value_kind:     hidden_group_size_y
      - .offset:         3184
        .size:           2
        .value_kind:     hidden_group_size_z
      - .offset:         3186
        .size:           2
        .value_kind:     hidden_remainder_x
      - .offset:         3188
        .size:           2
        .value_kind:     hidden_remainder_y
      - .offset:         3190
        .size:           2
        .value_kind:     hidden_remainder_z
      - .offset:         3208
        .size:           8
        .value_kind:     hidden_global_offset_x
      - .offset:         3216
        .size:           8
        .value_kind:     hidden_global_offset_y
      - .offset:         3224
        .size:           8
        .value_kind:     hidden_global_offset_z
      - .offset:         3232
        .size:           2
        .value_kind:     hidden_grid_dims
    .group_segment_fixed_size: 0
    .kernarg_segment_align: 8
    .kernarg_segment_size: 3424
    .language:       OpenCL C
    .language_version:
      - 2
      - 0
    .max_flat_workgroup_size: 512
    .name:           _ZN2at6native12_GLOBAL__N_125multi_tensor_apply_kernelINS1_18TensorListMetadataILi2EEENS1_27BinaryOpScalarTensorFunctorIbLi2ELi1ELi1EEEJSt4plusIbEPbbEEEvT_T0_DpT1_
    .private_segment_fixed_size: 0
    .sgpr_count:     32
    .sgpr_spill_count: 0
    .symbol:         _ZN2at6native12_GLOBAL__N_125multi_tensor_apply_kernelINS1_18TensorListMetadataILi2EEENS1_27BinaryOpScalarTensorFunctorIbLi2ELi1ELi1EEEJSt4plusIbEPbbEEEvT_T0_DpT1_.kd
    .uniform_work_group_size: 1
    .uses_dynamic_stack: false
    .vgpr_count:     34
    .vgpr_spill_count: 0
    .wavefront_size: 64
  - .agpr_count:     0
    .args:
      - .offset:         0
        .size:           3144
        .value_kind:     by_value
      - .offset:         3144
        .size:           1
        .value_kind:     by_value
      - .offset:         3145
        .size:           1
        .value_kind:     by_value
      - .address_space:  global
        .offset:         3152
        .size:           8
        .value_kind:     global_buffer
      - .offset:         3160
        .size:           4
        .value_kind:     by_value
      - .offset:         3168
        .size:           4
        .value_kind:     hidden_block_count_x
      - .offset:         3172
        .size:           4
        .value_kind:     hidden_block_count_y
      - .offset:         3176
        .size:           4
        .value_kind:     hidden_block_count_z
      - .offset:         3180
        .size:           2
        .value_kind:     hidden_group_size_x
      - .offset:         3182
        .size:           2
        .value_kind:     hidden_group_size_y
      - .offset:         3184
        .size:           2
        .value_kind:     hidden_group_size_z
      - .offset:         3186
        .size:           2
        .value_kind:     hidden_remainder_x
      - .offset:         3188
        .size:           2
        .value_kind:     hidden_remainder_y
      - .offset:         3190
        .size:           2
        .value_kind:     hidden_remainder_z
      - .offset:         3208
        .size:           8
        .value_kind:     hidden_global_offset_x
      - .offset:         3216
        .size:           8
        .value_kind:     hidden_global_offset_y
      - .offset:         3224
        .size:           8
        .value_kind:     hidden_global_offset_z
      - .offset:         3232
        .size:           2
        .value_kind:     hidden_grid_dims
    .group_segment_fixed_size: 0
    .kernarg_segment_align: 8
    .kernarg_segment_size: 3424
    .language:       OpenCL C
    .language_version:
      - 2
      - 0
    .max_flat_workgroup_size: 512
    .name:           _ZN2at6native12_GLOBAL__N_125multi_tensor_apply_kernelINS1_18TensorListMetadataILi2EEENS1_27BinaryOpScalarTensorFunctorIN3c104HalfELi2ELi1ELi1EEEJSt4plusIfEPS7_fEEEvT_T0_DpT1_
    .private_segment_fixed_size: 0
    .sgpr_count:     29
    .sgpr_spill_count: 0
    .symbol:         _ZN2at6native12_GLOBAL__N_125multi_tensor_apply_kernelINS1_18TensorListMetadataILi2EEENS1_27BinaryOpScalarTensorFunctorIN3c104HalfELi2ELi1ELi1EEEJSt4plusIfEPS7_fEEEvT_T0_DpT1_.kd
    .uniform_work_group_size: 1
    .uses_dynamic_stack: false
    .vgpr_count:     32
    .vgpr_spill_count: 0
    .wavefront_size: 64
  - .agpr_count:     0
    .args:
      - .offset:         0
        .size:           3144
        .value_kind:     by_value
      - .offset:         3144
        .size:           1
        .value_kind:     by_value
      - .offset:         3145
        .size:           1
        .value_kind:     by_value
      - .address_space:  global
        .offset:         3152
        .size:           8
        .value_kind:     global_buffer
      - .offset:         3160
        .size:           4
        .value_kind:     by_value
      - .offset:         3168
        .size:           4
        .value_kind:     hidden_block_count_x
      - .offset:         3172
        .size:           4
        .value_kind:     hidden_block_count_y
      - .offset:         3176
        .size:           4
        .value_kind:     hidden_block_count_z
      - .offset:         3180
        .size:           2
        .value_kind:     hidden_group_size_x
      - .offset:         3182
        .size:           2
        .value_kind:     hidden_group_size_y
      - .offset:         3184
        .size:           2
        .value_kind:     hidden_group_size_z
      - .offset:         3186
        .size:           2
        .value_kind:     hidden_remainder_x
      - .offset:         3188
        .size:           2
        .value_kind:     hidden_remainder_y
      - .offset:         3190
        .size:           2
        .value_kind:     hidden_remainder_z
      - .offset:         3208
        .size:           8
        .value_kind:     hidden_global_offset_x
      - .offset:         3216
        .size:           8
        .value_kind:     hidden_global_offset_y
      - .offset:         3224
        .size:           8
        .value_kind:     hidden_global_offset_z
      - .offset:         3232
        .size:           2
        .value_kind:     hidden_grid_dims
    .group_segment_fixed_size: 0
    .kernarg_segment_align: 8
    .kernarg_segment_size: 3424
    .language:       OpenCL C
    .language_version:
      - 2
      - 0
    .max_flat_workgroup_size: 512
    .name:           _ZN2at6native12_GLOBAL__N_125multi_tensor_apply_kernelINS1_18TensorListMetadataILi2EEENS1_27BinaryOpScalarTensorFunctorIN3c108BFloat16ELi2ELi1ELi1EEEJSt4plusIfEPS7_fEEEvT_T0_DpT1_
    .private_segment_fixed_size: 0
    .sgpr_count:     30
    .sgpr_spill_count: 0
    .symbol:         _ZN2at6native12_GLOBAL__N_125multi_tensor_apply_kernelINS1_18TensorListMetadataILi2EEENS1_27BinaryOpScalarTensorFunctorIN3c108BFloat16ELi2ELi1ELi1EEEJSt4plusIfEPS7_fEEEvT_T0_DpT1_.kd
    .uniform_work_group_size: 1
    .uses_dynamic_stack: false
    .vgpr_count:     32
    .vgpr_spill_count: 0
    .wavefront_size: 64
  - .agpr_count:     0
    .args:
      - .offset:         0
        .size:           3368
        .value_kind:     by_value
      - .offset:         3368
        .size:           1
        .value_kind:     by_value
      - .offset:         3369
        .size:           1
        .value_kind:     by_value
      - .address_space:  global
        .offset:         3376
        .size:           8
        .value_kind:     global_buffer
      - .offset:         3384
        .size:           1
        .value_kind:     by_value
      - .offset:         3392
        .size:           4
        .value_kind:     hidden_block_count_x
      - .offset:         3396
        .size:           4
        .value_kind:     hidden_block_count_y
      - .offset:         3400
        .size:           4
        .value_kind:     hidden_block_count_z
      - .offset:         3404
        .size:           2
        .value_kind:     hidden_group_size_x
      - .offset:         3406
        .size:           2
        .value_kind:     hidden_group_size_y
      - .offset:         3408
        .size:           2
        .value_kind:     hidden_group_size_z
      - .offset:         3410
        .size:           2
        .value_kind:     hidden_remainder_x
      - .offset:         3412
        .size:           2
        .value_kind:     hidden_remainder_y
      - .offset:         3414
        .size:           2
        .value_kind:     hidden_remainder_z
      - .offset:         3432
        .size:           8
        .value_kind:     hidden_global_offset_x
      - .offset:         3440
        .size:           8
        .value_kind:     hidden_global_offset_y
      - .offset:         3448
        .size:           8
        .value_kind:     hidden_global_offset_z
      - .offset:         3456
        .size:           2
        .value_kind:     hidden_grid_dims
    .group_segment_fixed_size: 0
    .kernarg_segment_align: 8
    .kernarg_segment_size: 3648
    .language:       OpenCL C
    .language_version:
      - 2
      - 0
    .max_flat_workgroup_size: 512
    .name:           _ZN2at6native12_GLOBAL__N_125multi_tensor_apply_kernelINS1_18TensorListMetadataILi1EEENS1_27BinaryOpScalarTensorFunctorIhLi1ELi1ELi0EEEJSt10multipliesIhEPhhEEEvT_T0_DpT1_
    .private_segment_fixed_size: 0
    .sgpr_count:     29
    .sgpr_spill_count: 0
    .symbol:         _ZN2at6native12_GLOBAL__N_125multi_tensor_apply_kernelINS1_18TensorListMetadataILi1EEENS1_27BinaryOpScalarTensorFunctorIhLi1ELi1ELi0EEEJSt10multipliesIhEPhhEEEvT_T0_DpT1_.kd
    .uniform_work_group_size: 1
    .uses_dynamic_stack: false
    .vgpr_count:     28
    .vgpr_spill_count: 0
    .wavefront_size: 64
  - .agpr_count:     0
    .args:
      - .offset:         0
        .size:           3368
        .value_kind:     by_value
      - .offset:         3368
        .size:           1
        .value_kind:     by_value
      - .offset:         3369
        .size:           1
        .value_kind:     by_value
      - .address_space:  global
        .offset:         3376
        .size:           8
        .value_kind:     global_buffer
      - .offset:         3384
        .size:           1
        .value_kind:     by_value
      - .offset:         3392
        .size:           4
        .value_kind:     hidden_block_count_x
      - .offset:         3396
        .size:           4
        .value_kind:     hidden_block_count_y
      - .offset:         3400
        .size:           4
        .value_kind:     hidden_block_count_z
      - .offset:         3404
        .size:           2
        .value_kind:     hidden_group_size_x
      - .offset:         3406
        .size:           2
        .value_kind:     hidden_group_size_y
      - .offset:         3408
        .size:           2
        .value_kind:     hidden_group_size_z
      - .offset:         3410
        .size:           2
        .value_kind:     hidden_remainder_x
      - .offset:         3412
        .size:           2
        .value_kind:     hidden_remainder_y
      - .offset:         3414
        .size:           2
        .value_kind:     hidden_remainder_z
      - .offset:         3432
        .size:           8
        .value_kind:     hidden_global_offset_x
      - .offset:         3440
        .size:           8
        .value_kind:     hidden_global_offset_y
      - .offset:         3448
        .size:           8
        .value_kind:     hidden_global_offset_z
      - .offset:         3456
        .size:           2
        .value_kind:     hidden_grid_dims
    .group_segment_fixed_size: 0
    .kernarg_segment_align: 8
    .kernarg_segment_size: 3648
    .language:       OpenCL C
    .language_version:
      - 2
      - 0
    .max_flat_workgroup_size: 512
    .name:           _ZN2at6native12_GLOBAL__N_125multi_tensor_apply_kernelINS1_18TensorListMetadataILi1EEENS1_27BinaryOpScalarTensorFunctorIaLi1ELi1ELi0EEEJSt10multipliesIaEPaaEEEvT_T0_DpT1_
    .private_segment_fixed_size: 0
    .sgpr_count:     29
    .sgpr_spill_count: 0
    .symbol:         _ZN2at6native12_GLOBAL__N_125multi_tensor_apply_kernelINS1_18TensorListMetadataILi1EEENS1_27BinaryOpScalarTensorFunctorIaLi1ELi1ELi0EEEJSt10multipliesIaEPaaEEEvT_T0_DpT1_.kd
    .uniform_work_group_size: 1
    .uses_dynamic_stack: false
    .vgpr_count:     28
    .vgpr_spill_count: 0
    .wavefront_size: 64
  - .agpr_count:     0
    .args:
      - .offset:         0
        .size:           3368
        .value_kind:     by_value
      - .offset:         3368
        .size:           1
        .value_kind:     by_value
      - .offset:         3369
        .size:           1
        .value_kind:     by_value
      - .address_space:  global
        .offset:         3376
        .size:           8
        .value_kind:     global_buffer
      - .offset:         3384
        .size:           4
        .value_kind:     by_value
      - .offset:         3392
        .size:           4
        .value_kind:     hidden_block_count_x
      - .offset:         3396
        .size:           4
        .value_kind:     hidden_block_count_y
      - .offset:         3400
        .size:           4
        .value_kind:     hidden_block_count_z
      - .offset:         3404
        .size:           2
        .value_kind:     hidden_group_size_x
      - .offset:         3406
        .size:           2
        .value_kind:     hidden_group_size_y
      - .offset:         3408
        .size:           2
        .value_kind:     hidden_group_size_z
      - .offset:         3410
        .size:           2
        .value_kind:     hidden_remainder_x
      - .offset:         3412
        .size:           2
        .value_kind:     hidden_remainder_y
      - .offset:         3414
        .size:           2
        .value_kind:     hidden_remainder_z
      - .offset:         3432
        .size:           8
        .value_kind:     hidden_global_offset_x
      - .offset:         3440
        .size:           8
        .value_kind:     hidden_global_offset_y
      - .offset:         3448
        .size:           8
        .value_kind:     hidden_global_offset_z
      - .offset:         3456
        .size:           2
        .value_kind:     hidden_grid_dims
    .group_segment_fixed_size: 0
    .kernarg_segment_align: 8
    .kernarg_segment_size: 3648
    .language:       OpenCL C
    .language_version:
      - 2
      - 0
    .max_flat_workgroup_size: 512
    .name:           _ZN2at6native12_GLOBAL__N_125multi_tensor_apply_kernelINS1_18TensorListMetadataILi1EEENS1_27BinaryOpScalarTensorFunctorIiLi1ELi1ELi0EEEJSt10multipliesIiEPiiEEEvT_T0_DpT1_
    .private_segment_fixed_size: 0
    .sgpr_count:     35
    .sgpr_spill_count: 0
    .symbol:         _ZN2at6native12_GLOBAL__N_125multi_tensor_apply_kernelINS1_18TensorListMetadataILi1EEENS1_27BinaryOpScalarTensorFunctorIiLi1ELi1ELi0EEEJSt10multipliesIiEPiiEEEvT_T0_DpT1_.kd
    .uniform_work_group_size: 1
    .uses_dynamic_stack: false
    .vgpr_count:     22
    .vgpr_spill_count: 0
    .wavefront_size: 64
  - .agpr_count:     0
    .args:
      - .offset:         0
        .size:           3368
        .value_kind:     by_value
      - .offset:         3368
        .size:           1
        .value_kind:     by_value
      - .offset:         3369
        .size:           1
        .value_kind:     by_value
      - .address_space:  global
        .offset:         3376
        .size:           8
        .value_kind:     global_buffer
      - .offset:         3384
        .size:           8
        .value_kind:     by_value
      - .offset:         3392
        .size:           4
        .value_kind:     hidden_block_count_x
      - .offset:         3396
        .size:           4
        .value_kind:     hidden_block_count_y
      - .offset:         3400
        .size:           4
        .value_kind:     hidden_block_count_z
      - .offset:         3404
        .size:           2
        .value_kind:     hidden_group_size_x
      - .offset:         3406
        .size:           2
        .value_kind:     hidden_group_size_y
      - .offset:         3408
        .size:           2
        .value_kind:     hidden_group_size_z
      - .offset:         3410
        .size:           2
        .value_kind:     hidden_remainder_x
      - .offset:         3412
        .size:           2
        .value_kind:     hidden_remainder_y
      - .offset:         3414
        .size:           2
        .value_kind:     hidden_remainder_z
      - .offset:         3432
        .size:           8
        .value_kind:     hidden_global_offset_x
      - .offset:         3440
        .size:           8
        .value_kind:     hidden_global_offset_y
      - .offset:         3448
        .size:           8
        .value_kind:     hidden_global_offset_z
      - .offset:         3456
        .size:           2
        .value_kind:     hidden_grid_dims
    .group_segment_fixed_size: 0
    .kernarg_segment_align: 8
    .kernarg_segment_size: 3648
    .language:       OpenCL C
    .language_version:
      - 2
      - 0
    .max_flat_workgroup_size: 512
    .name:           _ZN2at6native12_GLOBAL__N_125multi_tensor_apply_kernelINS1_18TensorListMetadataILi1EEENS1_27BinaryOpScalarTensorFunctorIlLi1ELi1ELi0EEEJSt10multipliesIlEPllEEEvT_T0_DpT1_
    .private_segment_fixed_size: 0
    .sgpr_count:     40
    .sgpr_spill_count: 0
    .symbol:         _ZN2at6native12_GLOBAL__N_125multi_tensor_apply_kernelINS1_18TensorListMetadataILi1EEENS1_27BinaryOpScalarTensorFunctorIlLi1ELi1ELi0EEEJSt10multipliesIlEPllEEEvT_T0_DpT1_.kd
    .uniform_work_group_size: 1
    .uses_dynamic_stack: false
    .vgpr_count:     26
    .vgpr_spill_count: 0
    .wavefront_size: 64
  - .agpr_count:     0
    .args:
      - .offset:         0
        .size:           3368
        .value_kind:     by_value
      - .offset:         3368
        .size:           1
        .value_kind:     by_value
      - .offset:         3369
        .size:           1
        .value_kind:     by_value
      - .address_space:  global
        .offset:         3376
        .size:           8
        .value_kind:     global_buffer
      - .offset:         3384
        .size:           2
        .value_kind:     by_value
      - .offset:         3392
        .size:           4
        .value_kind:     hidden_block_count_x
      - .offset:         3396
        .size:           4
        .value_kind:     hidden_block_count_y
      - .offset:         3400
        .size:           4
        .value_kind:     hidden_block_count_z
      - .offset:         3404
        .size:           2
        .value_kind:     hidden_group_size_x
      - .offset:         3406
        .size:           2
        .value_kind:     hidden_group_size_y
      - .offset:         3408
        .size:           2
        .value_kind:     hidden_group_size_z
      - .offset:         3410
        .size:           2
        .value_kind:     hidden_remainder_x
      - .offset:         3412
        .size:           2
        .value_kind:     hidden_remainder_y
      - .offset:         3414
        .size:           2
        .value_kind:     hidden_remainder_z
      - .offset:         3432
        .size:           8
        .value_kind:     hidden_global_offset_x
      - .offset:         3440
        .size:           8
        .value_kind:     hidden_global_offset_y
      - .offset:         3448
        .size:           8
        .value_kind:     hidden_global_offset_z
      - .offset:         3456
        .size:           2
        .value_kind:     hidden_grid_dims
    .group_segment_fixed_size: 0
    .kernarg_segment_align: 8
    .kernarg_segment_size: 3648
    .language:       OpenCL C
    .language_version:
      - 2
      - 0
    .max_flat_workgroup_size: 512
    .name:           _ZN2at6native12_GLOBAL__N_125multi_tensor_apply_kernelINS1_18TensorListMetadataILi1EEENS1_27BinaryOpScalarTensorFunctorIsLi1ELi1ELi0EEEJSt10multipliesIsEPssEEEvT_T0_DpT1_
    .private_segment_fixed_size: 0
    .sgpr_count:     35
    .sgpr_spill_count: 0
    .symbol:         _ZN2at6native12_GLOBAL__N_125multi_tensor_apply_kernelINS1_18TensorListMetadataILi1EEENS1_27BinaryOpScalarTensorFunctorIsLi1ELi1ELi0EEEJSt10multipliesIsEPssEEEvT_T0_DpT1_.kd
    .uniform_work_group_size: 1
    .uses_dynamic_stack: false
    .vgpr_count:     22
    .vgpr_spill_count: 0
    .wavefront_size: 64
  - .agpr_count:     0
    .args:
      - .offset:         0
        .size:           3368
        .value_kind:     by_value
      - .offset:         3368
        .size:           1
        .value_kind:     by_value
      - .offset:         3369
        .size:           1
        .value_kind:     by_value
      - .address_space:  global
        .offset:         3376
        .size:           8
        .value_kind:     global_buffer
      - .offset:         3384
        .size:           8
        .value_kind:     by_value
      - .offset:         3392
        .size:           4
        .value_kind:     hidden_block_count_x
      - .offset:         3396
        .size:           4
        .value_kind:     hidden_block_count_y
      - .offset:         3400
        .size:           4
        .value_kind:     hidden_block_count_z
      - .offset:         3404
        .size:           2
        .value_kind:     hidden_group_size_x
      - .offset:         3406
        .size:           2
        .value_kind:     hidden_group_size_y
      - .offset:         3408
        .size:           2
        .value_kind:     hidden_group_size_z
      - .offset:         3410
        .size:           2
        .value_kind:     hidden_remainder_x
      - .offset:         3412
        .size:           2
        .value_kind:     hidden_remainder_y
      - .offset:         3414
        .size:           2
        .value_kind:     hidden_remainder_z
      - .offset:         3432
        .size:           8
        .value_kind:     hidden_global_offset_x
      - .offset:         3440
        .size:           8
        .value_kind:     hidden_global_offset_y
      - .offset:         3448
        .size:           8
        .value_kind:     hidden_global_offset_z
      - .offset:         3456
        .size:           2
        .value_kind:     hidden_grid_dims
    .group_segment_fixed_size: 0
    .kernarg_segment_align: 8
    .kernarg_segment_size: 3648
    .language:       OpenCL C
    .language_version:
      - 2
      - 0
    .max_flat_workgroup_size: 512
    .name:           _ZN2at6native12_GLOBAL__N_125multi_tensor_apply_kernelINS1_18TensorListMetadataILi1EEENS1_27BinaryOpScalarTensorFunctorIdLi1ELi1ELi0EEEJSt10multipliesIdEPddEEEvT_T0_DpT1_
    .private_segment_fixed_size: 0
    .sgpr_count:     36
    .sgpr_spill_count: 0
    .symbol:         _ZN2at6native12_GLOBAL__N_125multi_tensor_apply_kernelINS1_18TensorListMetadataILi1EEENS1_27BinaryOpScalarTensorFunctorIdLi1ELi1ELi0EEEJSt10multipliesIdEPddEEEvT_T0_DpT1_.kd
    .uniform_work_group_size: 1
    .uses_dynamic_stack: false
    .vgpr_count:     25
    .vgpr_spill_count: 0
    .wavefront_size: 64
  - .agpr_count:     0
    .args:
      - .offset:         0
        .size:           3368
        .value_kind:     by_value
      - .offset:         3368
        .size:           1
        .value_kind:     by_value
      - .offset:         3369
        .size:           1
        .value_kind:     by_value
      - .address_space:  global
        .offset:         3376
        .size:           8
        .value_kind:     global_buffer
      - .offset:         3384
        .size:           4
        .value_kind:     by_value
      - .offset:         3392
        .size:           4
        .value_kind:     hidden_block_count_x
      - .offset:         3396
        .size:           4
        .value_kind:     hidden_block_count_y
      - .offset:         3400
        .size:           4
        .value_kind:     hidden_block_count_z
      - .offset:         3404
        .size:           2
        .value_kind:     hidden_group_size_x
      - .offset:         3406
        .size:           2
        .value_kind:     hidden_group_size_y
      - .offset:         3408
        .size:           2
        .value_kind:     hidden_group_size_z
      - .offset:         3410
        .size:           2
        .value_kind:     hidden_remainder_x
      - .offset:         3412
        .size:           2
        .value_kind:     hidden_remainder_y
      - .offset:         3414
        .size:           2
        .value_kind:     hidden_remainder_z
      - .offset:         3432
        .size:           8
        .value_kind:     hidden_global_offset_x
      - .offset:         3440
        .size:           8
        .value_kind:     hidden_global_offset_y
      - .offset:         3448
        .size:           8
        .value_kind:     hidden_global_offset_z
      - .offset:         3456
        .size:           2
        .value_kind:     hidden_grid_dims
    .group_segment_fixed_size: 0
    .kernarg_segment_align: 8
    .kernarg_segment_size: 3648
    .language:       OpenCL C
    .language_version:
      - 2
      - 0
    .max_flat_workgroup_size: 512
    .name:           _ZN2at6native12_GLOBAL__N_125multi_tensor_apply_kernelINS1_18TensorListMetadataILi1EEENS1_27BinaryOpScalarTensorFunctorIfLi1ELi1ELi0EEEJSt10multipliesIfEPffEEEvT_T0_DpT1_
    .private_segment_fixed_size: 0
    .sgpr_count:     35
    .sgpr_spill_count: 0
    .symbol:         _ZN2at6native12_GLOBAL__N_125multi_tensor_apply_kernelINS1_18TensorListMetadataILi1EEENS1_27BinaryOpScalarTensorFunctorIfLi1ELi1ELi0EEEJSt10multipliesIfEPffEEEvT_T0_DpT1_.kd
    .uniform_work_group_size: 1
    .uses_dynamic_stack: false
    .vgpr_count:     22
    .vgpr_spill_count: 0
    .wavefront_size: 64
  - .agpr_count:     0
    .args:
      - .offset:         0
        .size:           3368
        .value_kind:     by_value
      - .offset:         3368
        .size:           1
        .value_kind:     by_value
      - .offset:         3369
        .size:           1
        .value_kind:     by_value
      - .address_space:  global
        .offset:         3376
        .size:           8
        .value_kind:     global_buffer
      - .offset:         3392
        .size:           16
        .value_kind:     by_value
      - .offset:         3408
        .size:           4
        .value_kind:     hidden_block_count_x
      - .offset:         3412
        .size:           4
        .value_kind:     hidden_block_count_y
      - .offset:         3416
        .size:           4
        .value_kind:     hidden_block_count_z
      - .offset:         3420
        .size:           2
        .value_kind:     hidden_group_size_x
      - .offset:         3422
        .size:           2
        .value_kind:     hidden_group_size_y
      - .offset:         3424
        .size:           2
        .value_kind:     hidden_group_size_z
      - .offset:         3426
        .size:           2
        .value_kind:     hidden_remainder_x
      - .offset:         3428
        .size:           2
        .value_kind:     hidden_remainder_y
      - .offset:         3430
        .size:           2
        .value_kind:     hidden_remainder_z
      - .offset:         3448
        .size:           8
        .value_kind:     hidden_global_offset_x
      - .offset:         3456
        .size:           8
        .value_kind:     hidden_global_offset_y
      - .offset:         3464
        .size:           8
        .value_kind:     hidden_global_offset_z
      - .offset:         3472
        .size:           2
        .value_kind:     hidden_grid_dims
    .group_segment_fixed_size: 0
    .kernarg_segment_align: 16
    .kernarg_segment_size: 3664
    .language:       OpenCL C
    .language_version:
      - 2
      - 0
    .max_flat_workgroup_size: 512
    .name:           _ZN2at6native12_GLOBAL__N_125multi_tensor_apply_kernelINS1_18TensorListMetadataILi1EEENS1_27BinaryOpScalarTensorFunctorIN3c107complexIdEELi1ELi1ELi0EEEJSt10multipliesIS8_EPS8_S8_EEEvT_T0_DpT1_
    .private_segment_fixed_size: 0
    .sgpr_count:     36
    .sgpr_spill_count: 0
    .symbol:         _ZN2at6native12_GLOBAL__N_125multi_tensor_apply_kernelINS1_18TensorListMetadataILi1EEENS1_27BinaryOpScalarTensorFunctorIN3c107complexIdEELi1ELi1ELi0EEEJSt10multipliesIS8_EPS8_S8_EEEvT_T0_DpT1_.kd
    .uniform_work_group_size: 1
    .uses_dynamic_stack: false
    .vgpr_count:     44
    .vgpr_spill_count: 0
    .wavefront_size: 64
  - .agpr_count:     0
    .args:
      - .offset:         0
        .size:           3368
        .value_kind:     by_value
      - .offset:         3368
        .size:           1
        .value_kind:     by_value
      - .offset:         3369
        .size:           1
        .value_kind:     by_value
      - .address_space:  global
        .offset:         3376
        .size:           8
        .value_kind:     global_buffer
      - .offset:         3384
        .size:           8
        .value_kind:     by_value
      - .offset:         3392
        .size:           4
        .value_kind:     hidden_block_count_x
      - .offset:         3396
        .size:           4
        .value_kind:     hidden_block_count_y
      - .offset:         3400
        .size:           4
        .value_kind:     hidden_block_count_z
      - .offset:         3404
        .size:           2
        .value_kind:     hidden_group_size_x
      - .offset:         3406
        .size:           2
        .value_kind:     hidden_group_size_y
      - .offset:         3408
        .size:           2
        .value_kind:     hidden_group_size_z
      - .offset:         3410
        .size:           2
        .value_kind:     hidden_remainder_x
      - .offset:         3412
        .size:           2
        .value_kind:     hidden_remainder_y
      - .offset:         3414
        .size:           2
        .value_kind:     hidden_remainder_z
      - .offset:         3432
        .size:           8
        .value_kind:     hidden_global_offset_x
      - .offset:         3440
        .size:           8
        .value_kind:     hidden_global_offset_y
      - .offset:         3448
        .size:           8
        .value_kind:     hidden_global_offset_z
      - .offset:         3456
        .size:           2
        .value_kind:     hidden_grid_dims
    .group_segment_fixed_size: 0
    .kernarg_segment_align: 8
    .kernarg_segment_size: 3648
    .language:       OpenCL C
    .language_version:
      - 2
      - 0
    .max_flat_workgroup_size: 512
    .name:           _ZN2at6native12_GLOBAL__N_125multi_tensor_apply_kernelINS1_18TensorListMetadataILi1EEENS1_27BinaryOpScalarTensorFunctorIN3c107complexIfEELi1ELi1ELi0EEEJSt10multipliesIS8_EPS8_S8_EEEvT_T0_DpT1_
    .private_segment_fixed_size: 0
    .sgpr_count:     34
    .sgpr_spill_count: 0
    .symbol:         _ZN2at6native12_GLOBAL__N_125multi_tensor_apply_kernelINS1_18TensorListMetadataILi1EEENS1_27BinaryOpScalarTensorFunctorIN3c107complexIfEELi1ELi1ELi0EEEJSt10multipliesIS8_EPS8_S8_EEEvT_T0_DpT1_.kd
    .uniform_work_group_size: 1
    .uses_dynamic_stack: false
    .vgpr_count:     28
    .vgpr_spill_count: 0
    .wavefront_size: 64
  - .agpr_count:     0
    .args:
      - .offset:         0
        .size:           3368
        .value_kind:     by_value
      - .offset:         3368
        .size:           1
        .value_kind:     by_value
      - .offset:         3369
        .size:           1
        .value_kind:     by_value
      - .address_space:  global
        .offset:         3376
        .size:           8
        .value_kind:     global_buffer
      - .offset:         3384
        .size:           1
        .value_kind:     by_value
      - .offset:         3392
        .size:           4
        .value_kind:     hidden_block_count_x
      - .offset:         3396
        .size:           4
        .value_kind:     hidden_block_count_y
      - .offset:         3400
        .size:           4
        .value_kind:     hidden_block_count_z
      - .offset:         3404
        .size:           2
        .value_kind:     hidden_group_size_x
      - .offset:         3406
        .size:           2
        .value_kind:     hidden_group_size_y
      - .offset:         3408
        .size:           2
        .value_kind:     hidden_group_size_z
      - .offset:         3410
        .size:           2
        .value_kind:     hidden_remainder_x
      - .offset:         3412
        .size:           2
        .value_kind:     hidden_remainder_y
      - .offset:         3414
        .size:           2
        .value_kind:     hidden_remainder_z
      - .offset:         3432
        .size:           8
        .value_kind:     hidden_global_offset_x
      - .offset:         3440
        .size:           8
        .value_kind:     hidden_global_offset_y
      - .offset:         3448
        .size:           8
        .value_kind:     hidden_global_offset_z
      - .offset:         3456
        .size:           2
        .value_kind:     hidden_grid_dims
    .group_segment_fixed_size: 0
    .kernarg_segment_align: 8
    .kernarg_segment_size: 3648
    .language:       OpenCL C
    .language_version:
      - 2
      - 0
    .max_flat_workgroup_size: 512
    .name:           _ZN2at6native12_GLOBAL__N_125multi_tensor_apply_kernelINS1_18TensorListMetadataILi1EEENS1_27BinaryOpScalarTensorFunctorIbLi1ELi1ELi0EEEJSt10multipliesIbEPbbEEEvT_T0_DpT1_
    .private_segment_fixed_size: 0
    .sgpr_count:     32
    .sgpr_spill_count: 0
    .symbol:         _ZN2at6native12_GLOBAL__N_125multi_tensor_apply_kernelINS1_18TensorListMetadataILi1EEENS1_27BinaryOpScalarTensorFunctorIbLi1ELi1ELi0EEEJSt10multipliesIbEPbbEEEvT_T0_DpT1_.kd
    .uniform_work_group_size: 1
    .uses_dynamic_stack: false
    .vgpr_count:     26
    .vgpr_spill_count: 0
    .wavefront_size: 64
  - .agpr_count:     0
    .args:
      - .offset:         0
        .size:           3368
        .value_kind:     by_value
      - .offset:         3368
        .size:           1
        .value_kind:     by_value
      - .offset:         3369
        .size:           1
        .value_kind:     by_value
      - .address_space:  global
        .offset:         3376
        .size:           8
        .value_kind:     global_buffer
      - .offset:         3384
        .size:           4
        .value_kind:     by_value
      - .offset:         3392
        .size:           4
        .value_kind:     hidden_block_count_x
      - .offset:         3396
        .size:           4
        .value_kind:     hidden_block_count_y
      - .offset:         3400
        .size:           4
        .value_kind:     hidden_block_count_z
      - .offset:         3404
        .size:           2
        .value_kind:     hidden_group_size_x
      - .offset:         3406
        .size:           2
        .value_kind:     hidden_group_size_y
      - .offset:         3408
        .size:           2
        .value_kind:     hidden_group_size_z
      - .offset:         3410
        .size:           2
        .value_kind:     hidden_remainder_x
      - .offset:         3412
        .size:           2
        .value_kind:     hidden_remainder_y
      - .offset:         3414
        .size:           2
        .value_kind:     hidden_remainder_z
      - .offset:         3432
        .size:           8
        .value_kind:     hidden_global_offset_x
      - .offset:         3440
        .size:           8
        .value_kind:     hidden_global_offset_y
      - .offset:         3448
        .size:           8
        .value_kind:     hidden_global_offset_z
      - .offset:         3456
        .size:           2
        .value_kind:     hidden_grid_dims
    .group_segment_fixed_size: 0
    .kernarg_segment_align: 8
    .kernarg_segment_size: 3648
    .language:       OpenCL C
    .language_version:
      - 2
      - 0
    .max_flat_workgroup_size: 512
    .name:           _ZN2at6native12_GLOBAL__N_125multi_tensor_apply_kernelINS1_18TensorListMetadataILi1EEENS1_27BinaryOpScalarTensorFunctorIN3c104HalfELi1ELi1ELi0EEEJSt10multipliesIfEPS7_fEEEvT_T0_DpT1_
    .private_segment_fixed_size: 0
    .sgpr_count:     34
    .sgpr_spill_count: 0
    .symbol:         _ZN2at6native12_GLOBAL__N_125multi_tensor_apply_kernelINS1_18TensorListMetadataILi1EEENS1_27BinaryOpScalarTensorFunctorIN3c104HalfELi1ELi1ELi0EEEJSt10multipliesIfEPS7_fEEEvT_T0_DpT1_.kd
    .uniform_work_group_size: 1
    .uses_dynamic_stack: false
    .vgpr_count:     22
    .vgpr_spill_count: 0
    .wavefront_size: 64
  - .agpr_count:     0
    .args:
      - .offset:         0
        .size:           3368
        .value_kind:     by_value
      - .offset:         3368
        .size:           1
        .value_kind:     by_value
      - .offset:         3369
        .size:           1
        .value_kind:     by_value
      - .address_space:  global
        .offset:         3376
        .size:           8
        .value_kind:     global_buffer
      - .offset:         3384
        .size:           4
        .value_kind:     by_value
      - .offset:         3392
        .size:           4
        .value_kind:     hidden_block_count_x
      - .offset:         3396
        .size:           4
        .value_kind:     hidden_block_count_y
      - .offset:         3400
        .size:           4
        .value_kind:     hidden_block_count_z
      - .offset:         3404
        .size:           2
        .value_kind:     hidden_group_size_x
      - .offset:         3406
        .size:           2
        .value_kind:     hidden_group_size_y
      - .offset:         3408
        .size:           2
        .value_kind:     hidden_group_size_z
      - .offset:         3410
        .size:           2
        .value_kind:     hidden_remainder_x
      - .offset:         3412
        .size:           2
        .value_kind:     hidden_remainder_y
      - .offset:         3414
        .size:           2
        .value_kind:     hidden_remainder_z
      - .offset:         3432
        .size:           8
        .value_kind:     hidden_global_offset_x
      - .offset:         3440
        .size:           8
        .value_kind:     hidden_global_offset_y
      - .offset:         3448
        .size:           8
        .value_kind:     hidden_global_offset_z
      - .offset:         3456
        .size:           2
        .value_kind:     hidden_grid_dims
    .group_segment_fixed_size: 0
    .kernarg_segment_align: 8
    .kernarg_segment_size: 3648
    .language:       OpenCL C
    .language_version:
      - 2
      - 0
    .max_flat_workgroup_size: 512
    .name:           _ZN2at6native12_GLOBAL__N_125multi_tensor_apply_kernelINS1_18TensorListMetadataILi1EEENS1_27BinaryOpScalarTensorFunctorIN3c108BFloat16ELi1ELi1ELi0EEEJSt10multipliesIfEPS7_fEEEvT_T0_DpT1_
    .private_segment_fixed_size: 0
    .sgpr_count:     35
    .sgpr_spill_count: 0
    .symbol:         _ZN2at6native12_GLOBAL__N_125multi_tensor_apply_kernelINS1_18TensorListMetadataILi1EEENS1_27BinaryOpScalarTensorFunctorIN3c108BFloat16ELi1ELi1ELi0EEEJSt10multipliesIfEPS7_fEEEvT_T0_DpT1_.kd
    .uniform_work_group_size: 1
    .uses_dynamic_stack: false
    .vgpr_count:     24
    .vgpr_spill_count: 0
    .wavefront_size: 64
  - .agpr_count:     0
    .args:
      - .offset:         0
        .size:           3144
        .value_kind:     by_value
      - .offset:         3144
        .size:           1
        .value_kind:     by_value
      - .offset:         3145
        .size:           1
        .value_kind:     by_value
      - .address_space:  global
        .offset:         3152
        .size:           8
        .value_kind:     global_buffer
      - .offset:         3160
        .size:           1
        .value_kind:     by_value
      - .offset:         3168
        .size:           4
        .value_kind:     hidden_block_count_x
      - .offset:         3172
        .size:           4
        .value_kind:     hidden_block_count_y
      - .offset:         3176
        .size:           4
        .value_kind:     hidden_block_count_z
      - .offset:         3180
        .size:           2
        .value_kind:     hidden_group_size_x
      - .offset:         3182
        .size:           2
        .value_kind:     hidden_group_size_y
      - .offset:         3184
        .size:           2
        .value_kind:     hidden_group_size_z
      - .offset:         3186
        .size:           2
        .value_kind:     hidden_remainder_x
      - .offset:         3188
        .size:           2
        .value_kind:     hidden_remainder_y
      - .offset:         3190
        .size:           2
        .value_kind:     hidden_remainder_z
      - .offset:         3208
        .size:           8
        .value_kind:     hidden_global_offset_x
      - .offset:         3216
        .size:           8
        .value_kind:     hidden_global_offset_y
      - .offset:         3224
        .size:           8
        .value_kind:     hidden_global_offset_z
      - .offset:         3232
        .size:           2
        .value_kind:     hidden_grid_dims
    .group_segment_fixed_size: 0
    .kernarg_segment_align: 8
    .kernarg_segment_size: 3424
    .language:       OpenCL C
    .language_version:
      - 2
      - 0
    .max_flat_workgroup_size: 512
    .name:           _ZN2at6native12_GLOBAL__N_125multi_tensor_apply_kernelINS1_18TensorListMetadataILi2EEENS1_27BinaryOpScalarTensorFunctorIhLi2ELi1ELi1EEEJSt10multipliesIhEPhhEEEvT_T0_DpT1_
    .private_segment_fixed_size: 0
    .sgpr_count:     29
    .sgpr_spill_count: 0
    .symbol:         _ZN2at6native12_GLOBAL__N_125multi_tensor_apply_kernelINS1_18TensorListMetadataILi2EEENS1_27BinaryOpScalarTensorFunctorIhLi2ELi1ELi1EEEJSt10multipliesIhEPhhEEEvT_T0_DpT1_.kd
    .uniform_work_group_size: 1
    .uses_dynamic_stack: false
    .vgpr_count:     34
    .vgpr_spill_count: 0
    .wavefront_size: 64
  - .agpr_count:     0
    .args:
      - .offset:         0
        .size:           3144
        .value_kind:     by_value
      - .offset:         3144
        .size:           1
        .value_kind:     by_value
      - .offset:         3145
        .size:           1
        .value_kind:     by_value
      - .address_space:  global
        .offset:         3152
        .size:           8
        .value_kind:     global_buffer
      - .offset:         3160
        .size:           1
        .value_kind:     by_value
      - .offset:         3168
        .size:           4
        .value_kind:     hidden_block_count_x
      - .offset:         3172
        .size:           4
        .value_kind:     hidden_block_count_y
      - .offset:         3176
        .size:           4
        .value_kind:     hidden_block_count_z
      - .offset:         3180
        .size:           2
        .value_kind:     hidden_group_size_x
      - .offset:         3182
        .size:           2
        .value_kind:     hidden_group_size_y
      - .offset:         3184
        .size:           2
        .value_kind:     hidden_group_size_z
      - .offset:         3186
        .size:           2
        .value_kind:     hidden_remainder_x
      - .offset:         3188
        .size:           2
        .value_kind:     hidden_remainder_y
      - .offset:         3190
        .size:           2
        .value_kind:     hidden_remainder_z
      - .offset:         3208
        .size:           8
        .value_kind:     hidden_global_offset_x
      - .offset:         3216
        .size:           8
        .value_kind:     hidden_global_offset_y
      - .offset:         3224
        .size:           8
        .value_kind:     hidden_global_offset_z
      - .offset:         3232
        .size:           2
        .value_kind:     hidden_grid_dims
    .group_segment_fixed_size: 0
    .kernarg_segment_align: 8
    .kernarg_segment_size: 3424
    .language:       OpenCL C
    .language_version:
      - 2
      - 0
    .max_flat_workgroup_size: 512
    .name:           _ZN2at6native12_GLOBAL__N_125multi_tensor_apply_kernelINS1_18TensorListMetadataILi2EEENS1_27BinaryOpScalarTensorFunctorIaLi2ELi1ELi1EEEJSt10multipliesIaEPaaEEEvT_T0_DpT1_
    .private_segment_fixed_size: 0
    .sgpr_count:     29
    .sgpr_spill_count: 0
    .symbol:         _ZN2at6native12_GLOBAL__N_125multi_tensor_apply_kernelINS1_18TensorListMetadataILi2EEENS1_27BinaryOpScalarTensorFunctorIaLi2ELi1ELi1EEEJSt10multipliesIaEPaaEEEvT_T0_DpT1_.kd
    .uniform_work_group_size: 1
    .uses_dynamic_stack: false
    .vgpr_count:     34
    .vgpr_spill_count: 0
    .wavefront_size: 64
  - .agpr_count:     0
    .args:
      - .offset:         0
        .size:           3144
        .value_kind:     by_value
      - .offset:         3144
        .size:           1
        .value_kind:     by_value
      - .offset:         3145
        .size:           1
        .value_kind:     by_value
      - .address_space:  global
        .offset:         3152
        .size:           8
        .value_kind:     global_buffer
      - .offset:         3160
        .size:           4
        .value_kind:     by_value
      - .offset:         3168
        .size:           4
        .value_kind:     hidden_block_count_x
      - .offset:         3172
        .size:           4
        .value_kind:     hidden_block_count_y
      - .offset:         3176
        .size:           4
        .value_kind:     hidden_block_count_z
      - .offset:         3180
        .size:           2
        .value_kind:     hidden_group_size_x
      - .offset:         3182
        .size:           2
        .value_kind:     hidden_group_size_y
      - .offset:         3184
        .size:           2
        .value_kind:     hidden_group_size_z
      - .offset:         3186
        .size:           2
        .value_kind:     hidden_remainder_x
      - .offset:         3188
        .size:           2
        .value_kind:     hidden_remainder_y
      - .offset:         3190
        .size:           2
        .value_kind:     hidden_remainder_z
      - .offset:         3208
        .size:           8
        .value_kind:     hidden_global_offset_x
      - .offset:         3216
        .size:           8
        .value_kind:     hidden_global_offset_y
      - .offset:         3224
        .size:           8
        .value_kind:     hidden_global_offset_z
      - .offset:         3232
        .size:           2
        .value_kind:     hidden_grid_dims
    .group_segment_fixed_size: 0
    .kernarg_segment_align: 8
    .kernarg_segment_size: 3424
    .language:       OpenCL C
    .language_version:
      - 2
      - 0
    .max_flat_workgroup_size: 512
    .name:           _ZN2at6native12_GLOBAL__N_125multi_tensor_apply_kernelINS1_18TensorListMetadataILi2EEENS1_27BinaryOpScalarTensorFunctorIiLi2ELi1ELi1EEEJSt10multipliesIiEPiiEEEvT_T0_DpT1_
    .private_segment_fixed_size: 0
    .sgpr_count:     29
    .sgpr_spill_count: 0
    .symbol:         _ZN2at6native12_GLOBAL__N_125multi_tensor_apply_kernelINS1_18TensorListMetadataILi2EEENS1_27BinaryOpScalarTensorFunctorIiLi2ELi1ELi1EEEJSt10multipliesIiEPiiEEEvT_T0_DpT1_.kd
    .uniform_work_group_size: 1
    .uses_dynamic_stack: false
    .vgpr_count:     32
    .vgpr_spill_count: 0
    .wavefront_size: 64
  - .agpr_count:     0
    .args:
      - .offset:         0
        .size:           3144
        .value_kind:     by_value
      - .offset:         3144
        .size:           1
        .value_kind:     by_value
      - .offset:         3145
        .size:           1
        .value_kind:     by_value
      - .address_space:  global
        .offset:         3152
        .size:           8
        .value_kind:     global_buffer
      - .offset:         3160
        .size:           8
        .value_kind:     by_value
      - .offset:         3168
        .size:           4
        .value_kind:     hidden_block_count_x
      - .offset:         3172
        .size:           4
        .value_kind:     hidden_block_count_y
      - .offset:         3176
        .size:           4
        .value_kind:     hidden_block_count_z
      - .offset:         3180
        .size:           2
        .value_kind:     hidden_group_size_x
      - .offset:         3182
        .size:           2
        .value_kind:     hidden_group_size_y
      - .offset:         3184
        .size:           2
        .value_kind:     hidden_group_size_z
      - .offset:         3186
        .size:           2
        .value_kind:     hidden_remainder_x
      - .offset:         3188
        .size:           2
        .value_kind:     hidden_remainder_y
      - .offset:         3190
        .size:           2
        .value_kind:     hidden_remainder_z
      - .offset:         3208
        .size:           8
        .value_kind:     hidden_global_offset_x
      - .offset:         3216
        .size:           8
        .value_kind:     hidden_global_offset_y
      - .offset:         3224
        .size:           8
        .value_kind:     hidden_global_offset_z
      - .offset:         3232
        .size:           2
        .value_kind:     hidden_grid_dims
    .group_segment_fixed_size: 0
    .kernarg_segment_align: 8
    .kernarg_segment_size: 3424
    .language:       OpenCL C
    .language_version:
      - 2
      - 0
    .max_flat_workgroup_size: 512
    .name:           _ZN2at6native12_GLOBAL__N_125multi_tensor_apply_kernelINS1_18TensorListMetadataILi2EEENS1_27BinaryOpScalarTensorFunctorIlLi2ELi1ELi1EEEJSt10multipliesIlEPllEEEvT_T0_DpT1_
    .private_segment_fixed_size: 0
    .sgpr_count:     36
    .sgpr_spill_count: 0
    .symbol:         _ZN2at6native12_GLOBAL__N_125multi_tensor_apply_kernelINS1_18TensorListMetadataILi2EEENS1_27BinaryOpScalarTensorFunctorIlLi2ELi1ELi1EEEJSt10multipliesIlEPllEEEvT_T0_DpT1_.kd
    .uniform_work_group_size: 1
    .uses_dynamic_stack: false
    .vgpr_count:     36
    .vgpr_spill_count: 0
    .wavefront_size: 64
  - .agpr_count:     0
    .args:
      - .offset:         0
        .size:           3144
        .value_kind:     by_value
      - .offset:         3144
        .size:           1
        .value_kind:     by_value
      - .offset:         3145
        .size:           1
        .value_kind:     by_value
      - .address_space:  global
        .offset:         3152
        .size:           8
        .value_kind:     global_buffer
      - .offset:         3160
        .size:           2
        .value_kind:     by_value
      - .offset:         3168
        .size:           4
        .value_kind:     hidden_block_count_x
      - .offset:         3172
        .size:           4
        .value_kind:     hidden_block_count_y
      - .offset:         3176
        .size:           4
        .value_kind:     hidden_block_count_z
      - .offset:         3180
        .size:           2
        .value_kind:     hidden_group_size_x
      - .offset:         3182
        .size:           2
        .value_kind:     hidden_group_size_y
      - .offset:         3184
        .size:           2
        .value_kind:     hidden_group_size_z
      - .offset:         3186
        .size:           2
        .value_kind:     hidden_remainder_x
      - .offset:         3188
        .size:           2
        .value_kind:     hidden_remainder_y
      - .offset:         3190
        .size:           2
        .value_kind:     hidden_remainder_z
      - .offset:         3208
        .size:           8
        .value_kind:     hidden_global_offset_x
      - .offset:         3216
        .size:           8
        .value_kind:     hidden_global_offset_y
      - .offset:         3224
        .size:           8
        .value_kind:     hidden_global_offset_z
      - .offset:         3232
        .size:           2
        .value_kind:     hidden_grid_dims
    .group_segment_fixed_size: 0
    .kernarg_segment_align: 8
    .kernarg_segment_size: 3424
    .language:       OpenCL C
    .language_version:
      - 2
      - 0
    .max_flat_workgroup_size: 512
    .name:           _ZN2at6native12_GLOBAL__N_125multi_tensor_apply_kernelINS1_18TensorListMetadataILi2EEENS1_27BinaryOpScalarTensorFunctorIsLi2ELi1ELi1EEEJSt10multipliesIsEPssEEEvT_T0_DpT1_
    .private_segment_fixed_size: 0
    .sgpr_count:     30
    .sgpr_spill_count: 0
    .symbol:         _ZN2at6native12_GLOBAL__N_125multi_tensor_apply_kernelINS1_18TensorListMetadataILi2EEENS1_27BinaryOpScalarTensorFunctorIsLi2ELi1ELi1EEEJSt10multipliesIsEPssEEEvT_T0_DpT1_.kd
    .uniform_work_group_size: 1
    .uses_dynamic_stack: false
    .vgpr_count:     32
    .vgpr_spill_count: 0
    .wavefront_size: 64
  - .agpr_count:     0
    .args:
      - .offset:         0
        .size:           3144
        .value_kind:     by_value
      - .offset:         3144
        .size:           1
        .value_kind:     by_value
      - .offset:         3145
        .size:           1
        .value_kind:     by_value
      - .address_space:  global
        .offset:         3152
        .size:           8
        .value_kind:     global_buffer
      - .offset:         3160
        .size:           8
        .value_kind:     by_value
      - .offset:         3168
        .size:           4
        .value_kind:     hidden_block_count_x
      - .offset:         3172
        .size:           4
        .value_kind:     hidden_block_count_y
      - .offset:         3176
        .size:           4
        .value_kind:     hidden_block_count_z
      - .offset:         3180
        .size:           2
        .value_kind:     hidden_group_size_x
      - .offset:         3182
        .size:           2
        .value_kind:     hidden_group_size_y
      - .offset:         3184
        .size:           2
        .value_kind:     hidden_group_size_z
      - .offset:         3186
        .size:           2
        .value_kind:     hidden_remainder_x
      - .offset:         3188
        .size:           2
        .value_kind:     hidden_remainder_y
      - .offset:         3190
        .size:           2
        .value_kind:     hidden_remainder_z
      - .offset:         3208
        .size:           8
        .value_kind:     hidden_global_offset_x
      - .offset:         3216
        .size:           8
        .value_kind:     hidden_global_offset_y
      - .offset:         3224
        .size:           8
        .value_kind:     hidden_global_offset_z
      - .offset:         3232
        .size:           2
        .value_kind:     hidden_grid_dims
    .group_segment_fixed_size: 0
    .kernarg_segment_align: 8
    .kernarg_segment_size: 3424
    .language:       OpenCL C
    .language_version:
      - 2
      - 0
    .max_flat_workgroup_size: 512
    .name:           _ZN2at6native12_GLOBAL__N_125multi_tensor_apply_kernelINS1_18TensorListMetadataILi2EEENS1_27BinaryOpScalarTensorFunctorIdLi2ELi1ELi1EEEJSt10multipliesIdEPddEEEvT_T0_DpT1_
    .private_segment_fixed_size: 0
    .sgpr_count:     34
    .sgpr_spill_count: 0
    .symbol:         _ZN2at6native12_GLOBAL__N_125multi_tensor_apply_kernelINS1_18TensorListMetadataILi2EEENS1_27BinaryOpScalarTensorFunctorIdLi2ELi1ELi1EEEJSt10multipliesIdEPddEEEvT_T0_DpT1_.kd
    .uniform_work_group_size: 1
    .uses_dynamic_stack: false
    .vgpr_count:     36
    .vgpr_spill_count: 0
    .wavefront_size: 64
  - .agpr_count:     0
    .args:
      - .offset:         0
        .size:           3144
        .value_kind:     by_value
      - .offset:         3144
        .size:           1
        .value_kind:     by_value
      - .offset:         3145
        .size:           1
        .value_kind:     by_value
      - .address_space:  global
        .offset:         3152
        .size:           8
        .value_kind:     global_buffer
      - .offset:         3160
        .size:           4
        .value_kind:     by_value
      - .offset:         3168
        .size:           4
        .value_kind:     hidden_block_count_x
      - .offset:         3172
        .size:           4
        .value_kind:     hidden_block_count_y
      - .offset:         3176
        .size:           4
        .value_kind:     hidden_block_count_z
      - .offset:         3180
        .size:           2
        .value_kind:     hidden_group_size_x
      - .offset:         3182
        .size:           2
        .value_kind:     hidden_group_size_y
      - .offset:         3184
        .size:           2
        .value_kind:     hidden_group_size_z
      - .offset:         3186
        .size:           2
        .value_kind:     hidden_remainder_x
      - .offset:         3188
        .size:           2
        .value_kind:     hidden_remainder_y
      - .offset:         3190
        .size:           2
        .value_kind:     hidden_remainder_z
      - .offset:         3208
        .size:           8
        .value_kind:     hidden_global_offset_x
      - .offset:         3216
        .size:           8
        .value_kind:     hidden_global_offset_y
      - .offset:         3224
        .size:           8
        .value_kind:     hidden_global_offset_z
      - .offset:         3232
        .size:           2
        .value_kind:     hidden_grid_dims
    .group_segment_fixed_size: 0
    .kernarg_segment_align: 8
    .kernarg_segment_size: 3424
    .language:       OpenCL C
    .language_version:
      - 2
      - 0
    .max_flat_workgroup_size: 512
    .name:           _ZN2at6native12_GLOBAL__N_125multi_tensor_apply_kernelINS1_18TensorListMetadataILi2EEENS1_27BinaryOpScalarTensorFunctorIfLi2ELi1ELi1EEEJSt10multipliesIfEPffEEEvT_T0_DpT1_
    .private_segment_fixed_size: 0
    .sgpr_count:     29
    .sgpr_spill_count: 0
    .symbol:         _ZN2at6native12_GLOBAL__N_125multi_tensor_apply_kernelINS1_18TensorListMetadataILi2EEENS1_27BinaryOpScalarTensorFunctorIfLi2ELi1ELi1EEEJSt10multipliesIfEPffEEEvT_T0_DpT1_.kd
    .uniform_work_group_size: 1
    .uses_dynamic_stack: false
    .vgpr_count:     32
    .vgpr_spill_count: 0
    .wavefront_size: 64
  - .agpr_count:     0
    .args:
      - .offset:         0
        .size:           3144
        .value_kind:     by_value
      - .offset:         3144
        .size:           1
        .value_kind:     by_value
      - .offset:         3145
        .size:           1
        .value_kind:     by_value
      - .address_space:  global
        .offset:         3152
        .size:           8
        .value_kind:     global_buffer
      - .offset:         3168
        .size:           16
        .value_kind:     by_value
      - .offset:         3184
        .size:           4
        .value_kind:     hidden_block_count_x
      - .offset:         3188
        .size:           4
        .value_kind:     hidden_block_count_y
      - .offset:         3192
        .size:           4
        .value_kind:     hidden_block_count_z
      - .offset:         3196
        .size:           2
        .value_kind:     hidden_group_size_x
      - .offset:         3198
        .size:           2
        .value_kind:     hidden_group_size_y
      - .offset:         3200
        .size:           2
        .value_kind:     hidden_group_size_z
      - .offset:         3202
        .size:           2
        .value_kind:     hidden_remainder_x
      - .offset:         3204
        .size:           2
        .value_kind:     hidden_remainder_y
      - .offset:         3206
        .size:           2
        .value_kind:     hidden_remainder_z
      - .offset:         3224
        .size:           8
        .value_kind:     hidden_global_offset_x
      - .offset:         3232
        .size:           8
        .value_kind:     hidden_global_offset_y
      - .offset:         3240
        .size:           8
        .value_kind:     hidden_global_offset_z
      - .offset:         3248
        .size:           2
        .value_kind:     hidden_grid_dims
    .group_segment_fixed_size: 0
    .kernarg_segment_align: 16
    .kernarg_segment_size: 3440
    .language:       OpenCL C
    .language_version:
      - 2
      - 0
    .max_flat_workgroup_size: 512
    .name:           _ZN2at6native12_GLOBAL__N_125multi_tensor_apply_kernelINS1_18TensorListMetadataILi2EEENS1_27BinaryOpScalarTensorFunctorIN3c107complexIdEELi2ELi1ELi1EEEJSt10multipliesIS8_EPS8_S8_EEEvT_T0_DpT1_
    .private_segment_fixed_size: 0
    .sgpr_count:     39
    .sgpr_spill_count: 0
    .symbol:         _ZN2at6native12_GLOBAL__N_125multi_tensor_apply_kernelINS1_18TensorListMetadataILi2EEENS1_27BinaryOpScalarTensorFunctorIN3c107complexIdEELi2ELi1ELi1EEEJSt10multipliesIS8_EPS8_S8_EEEvT_T0_DpT1_.kd
    .uniform_work_group_size: 1
    .uses_dynamic_stack: false
    .vgpr_count:     46
    .vgpr_spill_count: 0
    .wavefront_size: 64
  - .agpr_count:     0
    .args:
      - .offset:         0
        .size:           3144
        .value_kind:     by_value
      - .offset:         3144
        .size:           1
        .value_kind:     by_value
      - .offset:         3145
        .size:           1
        .value_kind:     by_value
      - .address_space:  global
        .offset:         3152
        .size:           8
        .value_kind:     global_buffer
      - .offset:         3160
        .size:           8
        .value_kind:     by_value
      - .offset:         3168
        .size:           4
        .value_kind:     hidden_block_count_x
      - .offset:         3172
        .size:           4
        .value_kind:     hidden_block_count_y
      - .offset:         3176
        .size:           4
        .value_kind:     hidden_block_count_z
      - .offset:         3180
        .size:           2
        .value_kind:     hidden_group_size_x
      - .offset:         3182
        .size:           2
        .value_kind:     hidden_group_size_y
      - .offset:         3184
        .size:           2
        .value_kind:     hidden_group_size_z
      - .offset:         3186
        .size:           2
        .value_kind:     hidden_remainder_x
      - .offset:         3188
        .size:           2
        .value_kind:     hidden_remainder_y
      - .offset:         3190
        .size:           2
        .value_kind:     hidden_remainder_z
      - .offset:         3208
        .size:           8
        .value_kind:     hidden_global_offset_x
      - .offset:         3216
        .size:           8
        .value_kind:     hidden_global_offset_y
      - .offset:         3224
        .size:           8
        .value_kind:     hidden_global_offset_z
      - .offset:         3232
        .size:           2
        .value_kind:     hidden_grid_dims
    .group_segment_fixed_size: 0
    .kernarg_segment_align: 8
    .kernarg_segment_size: 3424
    .language:       OpenCL C
    .language_version:
      - 2
      - 0
    .max_flat_workgroup_size: 512
    .name:           _ZN2at6native12_GLOBAL__N_125multi_tensor_apply_kernelINS1_18TensorListMetadataILi2EEENS1_27BinaryOpScalarTensorFunctorIN3c107complexIfEELi2ELi1ELi1EEEJSt10multipliesIS8_EPS8_S8_EEEvT_T0_DpT1_
    .private_segment_fixed_size: 0
    .sgpr_count:     35
    .sgpr_spill_count: 0
    .symbol:         _ZN2at6native12_GLOBAL__N_125multi_tensor_apply_kernelINS1_18TensorListMetadataILi2EEENS1_27BinaryOpScalarTensorFunctorIN3c107complexIfEELi2ELi1ELi1EEEJSt10multipliesIS8_EPS8_S8_EEEvT_T0_DpT1_.kd
    .uniform_work_group_size: 1
    .uses_dynamic_stack: false
    .vgpr_count:     34
    .vgpr_spill_count: 0
    .wavefront_size: 64
  - .agpr_count:     0
    .args:
      - .offset:         0
        .size:           3144
        .value_kind:     by_value
      - .offset:         3144
        .size:           1
        .value_kind:     by_value
      - .offset:         3145
        .size:           1
        .value_kind:     by_value
      - .address_space:  global
        .offset:         3152
        .size:           8
        .value_kind:     global_buffer
      - .offset:         3160
        .size:           1
        .value_kind:     by_value
      - .offset:         3168
        .size:           4
        .value_kind:     hidden_block_count_x
      - .offset:         3172
        .size:           4
        .value_kind:     hidden_block_count_y
      - .offset:         3176
        .size:           4
        .value_kind:     hidden_block_count_z
      - .offset:         3180
        .size:           2
        .value_kind:     hidden_group_size_x
      - .offset:         3182
        .size:           2
        .value_kind:     hidden_group_size_y
      - .offset:         3184
        .size:           2
        .value_kind:     hidden_group_size_z
      - .offset:         3186
        .size:           2
        .value_kind:     hidden_remainder_x
      - .offset:         3188
        .size:           2
        .value_kind:     hidden_remainder_y
      - .offset:         3190
        .size:           2
        .value_kind:     hidden_remainder_z
      - .offset:         3208
        .size:           8
        .value_kind:     hidden_global_offset_x
      - .offset:         3216
        .size:           8
        .value_kind:     hidden_global_offset_y
      - .offset:         3224
        .size:           8
        .value_kind:     hidden_global_offset_z
      - .offset:         3232
        .size:           2
        .value_kind:     hidden_grid_dims
    .group_segment_fixed_size: 0
    .kernarg_segment_align: 8
    .kernarg_segment_size: 3424
    .language:       OpenCL C
    .language_version:
      - 2
      - 0
    .max_flat_workgroup_size: 512
    .name:           _ZN2at6native12_GLOBAL__N_125multi_tensor_apply_kernelINS1_18TensorListMetadataILi2EEENS1_27BinaryOpScalarTensorFunctorIbLi2ELi1ELi1EEEJSt10multipliesIbEPbbEEEvT_T0_DpT1_
    .private_segment_fixed_size: 0
    .sgpr_count:     40
    .sgpr_spill_count: 0
    .symbol:         _ZN2at6native12_GLOBAL__N_125multi_tensor_apply_kernelINS1_18TensorListMetadataILi2EEENS1_27BinaryOpScalarTensorFunctorIbLi2ELi1ELi1EEEJSt10multipliesIbEPbbEEEvT_T0_DpT1_.kd
    .uniform_work_group_size: 1
    .uses_dynamic_stack: false
    .vgpr_count:     32
    .vgpr_spill_count: 0
    .wavefront_size: 64
  - .agpr_count:     0
    .args:
      - .offset:         0
        .size:           3144
        .value_kind:     by_value
      - .offset:         3144
        .size:           1
        .value_kind:     by_value
      - .offset:         3145
        .size:           1
        .value_kind:     by_value
      - .address_space:  global
        .offset:         3152
        .size:           8
        .value_kind:     global_buffer
      - .offset:         3160
        .size:           4
        .value_kind:     by_value
      - .offset:         3168
        .size:           4
        .value_kind:     hidden_block_count_x
      - .offset:         3172
        .size:           4
        .value_kind:     hidden_block_count_y
      - .offset:         3176
        .size:           4
        .value_kind:     hidden_block_count_z
      - .offset:         3180
        .size:           2
        .value_kind:     hidden_group_size_x
      - .offset:         3182
        .size:           2
        .value_kind:     hidden_group_size_y
      - .offset:         3184
        .size:           2
        .value_kind:     hidden_group_size_z
      - .offset:         3186
        .size:           2
        .value_kind:     hidden_remainder_x
      - .offset:         3188
        .size:           2
        .value_kind:     hidden_remainder_y
      - .offset:         3190
        .size:           2
        .value_kind:     hidden_remainder_z
      - .offset:         3208
        .size:           8
        .value_kind:     hidden_global_offset_x
      - .offset:         3216
        .size:           8
        .value_kind:     hidden_global_offset_y
      - .offset:         3224
        .size:           8
        .value_kind:     hidden_global_offset_z
      - .offset:         3232
        .size:           2
        .value_kind:     hidden_grid_dims
    .group_segment_fixed_size: 0
    .kernarg_segment_align: 8
    .kernarg_segment_size: 3424
    .language:       OpenCL C
    .language_version:
      - 2
      - 0
    .max_flat_workgroup_size: 512
    .name:           _ZN2at6native12_GLOBAL__N_125multi_tensor_apply_kernelINS1_18TensorListMetadataILi2EEENS1_27BinaryOpScalarTensorFunctorIN3c104HalfELi2ELi1ELi1EEEJSt10multipliesIfEPS7_fEEEvT_T0_DpT1_
    .private_segment_fixed_size: 0
    .sgpr_count:     29
    .sgpr_spill_count: 0
    .symbol:         _ZN2at6native12_GLOBAL__N_125multi_tensor_apply_kernelINS1_18TensorListMetadataILi2EEENS1_27BinaryOpScalarTensorFunctorIN3c104HalfELi2ELi1ELi1EEEJSt10multipliesIfEPS7_fEEEvT_T0_DpT1_.kd
    .uniform_work_group_size: 1
    .uses_dynamic_stack: false
    .vgpr_count:     32
    .vgpr_spill_count: 0
    .wavefront_size: 64
  - .agpr_count:     0
    .args:
      - .offset:         0
        .size:           3144
        .value_kind:     by_value
      - .offset:         3144
        .size:           1
        .value_kind:     by_value
      - .offset:         3145
        .size:           1
        .value_kind:     by_value
      - .address_space:  global
        .offset:         3152
        .size:           8
        .value_kind:     global_buffer
      - .offset:         3160
        .size:           4
        .value_kind:     by_value
      - .offset:         3168
        .size:           4
        .value_kind:     hidden_block_count_x
      - .offset:         3172
        .size:           4
        .value_kind:     hidden_block_count_y
      - .offset:         3176
        .size:           4
        .value_kind:     hidden_block_count_z
      - .offset:         3180
        .size:           2
        .value_kind:     hidden_group_size_x
      - .offset:         3182
        .size:           2
        .value_kind:     hidden_group_size_y
      - .offset:         3184
        .size:           2
        .value_kind:     hidden_group_size_z
      - .offset:         3186
        .size:           2
        .value_kind:     hidden_remainder_x
      - .offset:         3188
        .size:           2
        .value_kind:     hidden_remainder_y
      - .offset:         3190
        .size:           2
        .value_kind:     hidden_remainder_z
      - .offset:         3208
        .size:           8
        .value_kind:     hidden_global_offset_x
      - .offset:         3216
        .size:           8
        .value_kind:     hidden_global_offset_y
      - .offset:         3224
        .size:           8
        .value_kind:     hidden_global_offset_z
      - .offset:         3232
        .size:           2
        .value_kind:     hidden_grid_dims
    .group_segment_fixed_size: 0
    .kernarg_segment_align: 8
    .kernarg_segment_size: 3424
    .language:       OpenCL C
    .language_version:
      - 2
      - 0
    .max_flat_workgroup_size: 512
    .name:           _ZN2at6native12_GLOBAL__N_125multi_tensor_apply_kernelINS1_18TensorListMetadataILi2EEENS1_27BinaryOpScalarTensorFunctorIN3c108BFloat16ELi2ELi1ELi1EEEJSt10multipliesIfEPS7_fEEEvT_T0_DpT1_
    .private_segment_fixed_size: 0
    .sgpr_count:     30
    .sgpr_spill_count: 0
    .symbol:         _ZN2at6native12_GLOBAL__N_125multi_tensor_apply_kernelINS1_18TensorListMetadataILi2EEENS1_27BinaryOpScalarTensorFunctorIN3c108BFloat16ELi2ELi1ELi1EEEJSt10multipliesIfEPS7_fEEEvT_T0_DpT1_.kd
    .uniform_work_group_size: 1
    .uses_dynamic_stack: false
    .vgpr_count:     32
    .vgpr_spill_count: 0
    .wavefront_size: 64
  - .agpr_count:     0
    .args:
      - .offset:         0
        .size:           3368
        .value_kind:     by_value
      - .offset:         3368
        .size:           1
        .value_kind:     by_value
      - .offset:         3369
        .size:           1
        .value_kind:     by_value
      - .address_space:  global
        .offset:         3376
        .size:           8
        .value_kind:     global_buffer
      - .offset:         3384
        .size:           1
        .value_kind:     by_value
      - .offset:         3392
        .size:           4
        .value_kind:     hidden_block_count_x
      - .offset:         3396
        .size:           4
        .value_kind:     hidden_block_count_y
      - .offset:         3400
        .size:           4
        .value_kind:     hidden_block_count_z
      - .offset:         3404
        .size:           2
        .value_kind:     hidden_group_size_x
      - .offset:         3406
        .size:           2
        .value_kind:     hidden_group_size_y
      - .offset:         3408
        .size:           2
        .value_kind:     hidden_group_size_z
      - .offset:         3410
        .size:           2
        .value_kind:     hidden_remainder_x
      - .offset:         3412
        .size:           2
        .value_kind:     hidden_remainder_y
      - .offset:         3414
        .size:           2
        .value_kind:     hidden_remainder_z
      - .offset:         3432
        .size:           8
        .value_kind:     hidden_global_offset_x
      - .offset:         3440
        .size:           8
        .value_kind:     hidden_global_offset_y
      - .offset:         3448
        .size:           8
        .value_kind:     hidden_global_offset_z
      - .offset:         3456
        .size:           2
        .value_kind:     hidden_grid_dims
    .group_segment_fixed_size: 0
    .kernarg_segment_align: 8
    .kernarg_segment_size: 3648
    .language:       OpenCL C
    .language_version:
      - 2
      - 0
    .max_flat_workgroup_size: 512
    .name:           _ZN2at6native12_GLOBAL__N_125multi_tensor_apply_kernelINS1_18TensorListMetadataILi1EEENS1_27BinaryOpScalarTensorFunctorIhLi1ELi1ELi0EEEJSt7dividesIhEPhhEEEvT_T0_DpT1_
    .private_segment_fixed_size: 0
    .sgpr_count:     29
    .sgpr_spill_count: 0
    .symbol:         _ZN2at6native12_GLOBAL__N_125multi_tensor_apply_kernelINS1_18TensorListMetadataILi1EEENS1_27BinaryOpScalarTensorFunctorIhLi1ELi1ELi0EEEJSt7dividesIhEPhhEEEvT_T0_DpT1_.kd
    .uniform_work_group_size: 1
    .uses_dynamic_stack: false
    .vgpr_count:     28
    .vgpr_spill_count: 0
    .wavefront_size: 64
  - .agpr_count:     0
    .args:
      - .offset:         0
        .size:           3368
        .value_kind:     by_value
      - .offset:         3368
        .size:           1
        .value_kind:     by_value
      - .offset:         3369
        .size:           1
        .value_kind:     by_value
      - .address_space:  global
        .offset:         3376
        .size:           8
        .value_kind:     global_buffer
      - .offset:         3384
        .size:           1
        .value_kind:     by_value
      - .offset:         3392
        .size:           4
        .value_kind:     hidden_block_count_x
      - .offset:         3396
        .size:           4
        .value_kind:     hidden_block_count_y
      - .offset:         3400
        .size:           4
        .value_kind:     hidden_block_count_z
      - .offset:         3404
        .size:           2
        .value_kind:     hidden_group_size_x
      - .offset:         3406
        .size:           2
        .value_kind:     hidden_group_size_y
      - .offset:         3408
        .size:           2
        .value_kind:     hidden_group_size_z
      - .offset:         3410
        .size:           2
        .value_kind:     hidden_remainder_x
      - .offset:         3412
        .size:           2
        .value_kind:     hidden_remainder_y
      - .offset:         3414
        .size:           2
        .value_kind:     hidden_remainder_z
      - .offset:         3432
        .size:           8
        .value_kind:     hidden_global_offset_x
      - .offset:         3440
        .size:           8
        .value_kind:     hidden_global_offset_y
      - .offset:         3448
        .size:           8
        .value_kind:     hidden_global_offset_z
      - .offset:         3456
        .size:           2
        .value_kind:     hidden_grid_dims
    .group_segment_fixed_size: 0
    .kernarg_segment_align: 8
    .kernarg_segment_size: 3648
    .language:       OpenCL C
    .language_version:
      - 2
      - 0
    .max_flat_workgroup_size: 512
    .name:           _ZN2at6native12_GLOBAL__N_125multi_tensor_apply_kernelINS1_18TensorListMetadataILi1EEENS1_27BinaryOpScalarTensorFunctorIaLi1ELi1ELi0EEEJSt7dividesIaEPaaEEEvT_T0_DpT1_
    .private_segment_fixed_size: 0
    .sgpr_count:     29
    .sgpr_spill_count: 0
    .symbol:         _ZN2at6native12_GLOBAL__N_125multi_tensor_apply_kernelINS1_18TensorListMetadataILi1EEENS1_27BinaryOpScalarTensorFunctorIaLi1ELi1ELi0EEEJSt7dividesIaEPaaEEEvT_T0_DpT1_.kd
    .uniform_work_group_size: 1
    .uses_dynamic_stack: false
    .vgpr_count:     30
    .vgpr_spill_count: 0
    .wavefront_size: 64
  - .agpr_count:     0
    .args:
      - .offset:         0
        .size:           3368
        .value_kind:     by_value
      - .offset:         3368
        .size:           1
        .value_kind:     by_value
      - .offset:         3369
        .size:           1
        .value_kind:     by_value
      - .address_space:  global
        .offset:         3376
        .size:           8
        .value_kind:     global_buffer
      - .offset:         3384
        .size:           4
        .value_kind:     by_value
      - .offset:         3392
        .size:           4
        .value_kind:     hidden_block_count_x
      - .offset:         3396
        .size:           4
        .value_kind:     hidden_block_count_y
      - .offset:         3400
        .size:           4
        .value_kind:     hidden_block_count_z
      - .offset:         3404
        .size:           2
        .value_kind:     hidden_group_size_x
      - .offset:         3406
        .size:           2
        .value_kind:     hidden_group_size_y
      - .offset:         3408
        .size:           2
        .value_kind:     hidden_group_size_z
      - .offset:         3410
        .size:           2
        .value_kind:     hidden_remainder_x
      - .offset:         3412
        .size:           2
        .value_kind:     hidden_remainder_y
      - .offset:         3414
        .size:           2
        .value_kind:     hidden_remainder_z
      - .offset:         3432
        .size:           8
        .value_kind:     hidden_global_offset_x
      - .offset:         3440
        .size:           8
        .value_kind:     hidden_global_offset_y
      - .offset:         3448
        .size:           8
        .value_kind:     hidden_global_offset_z
      - .offset:         3456
        .size:           2
        .value_kind:     hidden_grid_dims
    .group_segment_fixed_size: 0
    .kernarg_segment_align: 8
    .kernarg_segment_size: 3648
    .language:       OpenCL C
    .language_version:
      - 2
      - 0
    .max_flat_workgroup_size: 512
    .name:           _ZN2at6native12_GLOBAL__N_125multi_tensor_apply_kernelINS1_18TensorListMetadataILi1EEENS1_27BinaryOpScalarTensorFunctorIiLi1ELi1ELi0EEEJSt7dividesIiEPiiEEEvT_T0_DpT1_
    .private_segment_fixed_size: 0
    .sgpr_count:     35
    .sgpr_spill_count: 0
    .symbol:         _ZN2at6native12_GLOBAL__N_125multi_tensor_apply_kernelINS1_18TensorListMetadataILi1EEENS1_27BinaryOpScalarTensorFunctorIiLi1ELi1ELi0EEEJSt7dividesIiEPiiEEEvT_T0_DpT1_.kd
    .uniform_work_group_size: 1
    .uses_dynamic_stack: false
    .vgpr_count:     27
    .vgpr_spill_count: 0
    .wavefront_size: 64
  - .agpr_count:     0
    .args:
      - .offset:         0
        .size:           3368
        .value_kind:     by_value
      - .offset:         3368
        .size:           1
        .value_kind:     by_value
      - .offset:         3369
        .size:           1
        .value_kind:     by_value
      - .address_space:  global
        .offset:         3376
        .size:           8
        .value_kind:     global_buffer
      - .offset:         3384
        .size:           8
        .value_kind:     by_value
      - .offset:         3392
        .size:           4
        .value_kind:     hidden_block_count_x
      - .offset:         3396
        .size:           4
        .value_kind:     hidden_block_count_y
      - .offset:         3400
        .size:           4
        .value_kind:     hidden_block_count_z
      - .offset:         3404
        .size:           2
        .value_kind:     hidden_group_size_x
      - .offset:         3406
        .size:           2
        .value_kind:     hidden_group_size_y
      - .offset:         3408
        .size:           2
        .value_kind:     hidden_group_size_z
      - .offset:         3410
        .size:           2
        .value_kind:     hidden_remainder_x
      - .offset:         3412
        .size:           2
        .value_kind:     hidden_remainder_y
      - .offset:         3414
        .size:           2
        .value_kind:     hidden_remainder_z
      - .offset:         3432
        .size:           8
        .value_kind:     hidden_global_offset_x
      - .offset:         3440
        .size:           8
        .value_kind:     hidden_global_offset_y
      - .offset:         3448
        .size:           8
        .value_kind:     hidden_global_offset_z
      - .offset:         3456
        .size:           2
        .value_kind:     hidden_grid_dims
    .group_segment_fixed_size: 0
    .kernarg_segment_align: 8
    .kernarg_segment_size: 3648
    .language:       OpenCL C
    .language_version:
      - 2
      - 0
    .max_flat_workgroup_size: 512
    .name:           _ZN2at6native12_GLOBAL__N_125multi_tensor_apply_kernelINS1_18TensorListMetadataILi1EEENS1_27BinaryOpScalarTensorFunctorIlLi1ELi1ELi0EEEJSt7dividesIlEPllEEEvT_T0_DpT1_
    .private_segment_fixed_size: 0
    .sgpr_count:     46
    .sgpr_spill_count: 0
    .symbol:         _ZN2at6native12_GLOBAL__N_125multi_tensor_apply_kernelINS1_18TensorListMetadataILi1EEENS1_27BinaryOpScalarTensorFunctorIlLi1ELi1ELi0EEEJSt7dividesIlEPllEEEvT_T0_DpT1_.kd
    .uniform_work_group_size: 1
    .uses_dynamic_stack: false
    .vgpr_count:     29
    .vgpr_spill_count: 0
    .wavefront_size: 64
  - .agpr_count:     0
    .args:
      - .offset:         0
        .size:           3368
        .value_kind:     by_value
      - .offset:         3368
        .size:           1
        .value_kind:     by_value
      - .offset:         3369
        .size:           1
        .value_kind:     by_value
      - .address_space:  global
        .offset:         3376
        .size:           8
        .value_kind:     global_buffer
      - .offset:         3384
        .size:           2
        .value_kind:     by_value
      - .offset:         3392
        .size:           4
        .value_kind:     hidden_block_count_x
      - .offset:         3396
        .size:           4
        .value_kind:     hidden_block_count_y
      - .offset:         3400
        .size:           4
        .value_kind:     hidden_block_count_z
      - .offset:         3404
        .size:           2
        .value_kind:     hidden_group_size_x
      - .offset:         3406
        .size:           2
        .value_kind:     hidden_group_size_y
      - .offset:         3408
        .size:           2
        .value_kind:     hidden_group_size_z
      - .offset:         3410
        .size:           2
        .value_kind:     hidden_remainder_x
      - .offset:         3412
        .size:           2
        .value_kind:     hidden_remainder_y
      - .offset:         3414
        .size:           2
        .value_kind:     hidden_remainder_z
      - .offset:         3432
        .size:           8
        .value_kind:     hidden_global_offset_x
      - .offset:         3440
        .size:           8
        .value_kind:     hidden_global_offset_y
      - .offset:         3448
        .size:           8
        .value_kind:     hidden_global_offset_z
      - .offset:         3456
        .size:           2
        .value_kind:     hidden_grid_dims
    .group_segment_fixed_size: 0
    .kernarg_segment_align: 8
    .kernarg_segment_size: 3648
    .language:       OpenCL C
    .language_version:
      - 2
      - 0
    .max_flat_workgroup_size: 512
    .name:           _ZN2at6native12_GLOBAL__N_125multi_tensor_apply_kernelINS1_18TensorListMetadataILi1EEENS1_27BinaryOpScalarTensorFunctorIsLi1ELi1ELi0EEEJSt7dividesIsEPssEEEvT_T0_DpT1_
    .private_segment_fixed_size: 0
    .sgpr_count:     35
    .sgpr_spill_count: 0
    .symbol:         _ZN2at6native12_GLOBAL__N_125multi_tensor_apply_kernelINS1_18TensorListMetadataILi1EEENS1_27BinaryOpScalarTensorFunctorIsLi1ELi1ELi0EEEJSt7dividesIsEPssEEEvT_T0_DpT1_.kd
    .uniform_work_group_size: 1
    .uses_dynamic_stack: false
    .vgpr_count:     25
    .vgpr_spill_count: 0
    .wavefront_size: 64
  - .agpr_count:     0
    .args:
      - .offset:         0
        .size:           3368
        .value_kind:     by_value
      - .offset:         3368
        .size:           1
        .value_kind:     by_value
      - .offset:         3369
        .size:           1
        .value_kind:     by_value
      - .address_space:  global
        .offset:         3376
        .size:           8
        .value_kind:     global_buffer
      - .offset:         3384
        .size:           8
        .value_kind:     by_value
      - .offset:         3392
        .size:           4
        .value_kind:     hidden_block_count_x
      - .offset:         3396
        .size:           4
        .value_kind:     hidden_block_count_y
      - .offset:         3400
        .size:           4
        .value_kind:     hidden_block_count_z
      - .offset:         3404
        .size:           2
        .value_kind:     hidden_group_size_x
      - .offset:         3406
        .size:           2
        .value_kind:     hidden_group_size_y
      - .offset:         3408
        .size:           2
        .value_kind:     hidden_group_size_z
      - .offset:         3410
        .size:           2
        .value_kind:     hidden_remainder_x
      - .offset:         3412
        .size:           2
        .value_kind:     hidden_remainder_y
      - .offset:         3414
        .size:           2
        .value_kind:     hidden_remainder_z
      - .offset:         3432
        .size:           8
        .value_kind:     hidden_global_offset_x
      - .offset:         3440
        .size:           8
        .value_kind:     hidden_global_offset_y
      - .offset:         3448
        .size:           8
        .value_kind:     hidden_global_offset_z
      - .offset:         3456
        .size:           2
        .value_kind:     hidden_grid_dims
    .group_segment_fixed_size: 0
    .kernarg_segment_align: 8
    .kernarg_segment_size: 3648
    .language:       OpenCL C
    .language_version:
      - 2
      - 0
    .max_flat_workgroup_size: 512
    .name:           _ZN2at6native12_GLOBAL__N_125multi_tensor_apply_kernelINS1_18TensorListMetadataILi1EEENS1_27BinaryOpScalarTensorFunctorIdLi1ELi1ELi0EEEJSt7dividesIdEPddEEEvT_T0_DpT1_
    .private_segment_fixed_size: 0
    .sgpr_count:     38
    .sgpr_spill_count: 0
    .symbol:         _ZN2at6native12_GLOBAL__N_125multi_tensor_apply_kernelINS1_18TensorListMetadataILi1EEENS1_27BinaryOpScalarTensorFunctorIdLi1ELi1ELi0EEEJSt7dividesIdEPddEEEvT_T0_DpT1_.kd
    .uniform_work_group_size: 1
    .uses_dynamic_stack: false
    .vgpr_count:     50
    .vgpr_spill_count: 0
    .wavefront_size: 64
  - .agpr_count:     0
    .args:
      - .offset:         0
        .size:           3368
        .value_kind:     by_value
      - .offset:         3368
        .size:           1
        .value_kind:     by_value
      - .offset:         3369
        .size:           1
        .value_kind:     by_value
      - .address_space:  global
        .offset:         3376
        .size:           8
        .value_kind:     global_buffer
      - .offset:         3384
        .size:           4
        .value_kind:     by_value
      - .offset:         3392
        .size:           4
        .value_kind:     hidden_block_count_x
      - .offset:         3396
        .size:           4
        .value_kind:     hidden_block_count_y
      - .offset:         3400
        .size:           4
        .value_kind:     hidden_block_count_z
      - .offset:         3404
        .size:           2
        .value_kind:     hidden_group_size_x
      - .offset:         3406
        .size:           2
        .value_kind:     hidden_group_size_y
      - .offset:         3408
        .size:           2
        .value_kind:     hidden_group_size_z
      - .offset:         3410
        .size:           2
        .value_kind:     hidden_remainder_x
      - .offset:         3412
        .size:           2
        .value_kind:     hidden_remainder_y
      - .offset:         3414
        .size:           2
        .value_kind:     hidden_remainder_z
      - .offset:         3432
        .size:           8
        .value_kind:     hidden_global_offset_x
      - .offset:         3440
        .size:           8
        .value_kind:     hidden_global_offset_y
      - .offset:         3448
        .size:           8
        .value_kind:     hidden_global_offset_z
      - .offset:         3456
        .size:           2
        .value_kind:     hidden_grid_dims
    .group_segment_fixed_size: 0
    .kernarg_segment_align: 8
    .kernarg_segment_size: 3648
    .language:       OpenCL C
    .language_version:
      - 2
      - 0
    .max_flat_workgroup_size: 512
    .name:           _ZN2at6native12_GLOBAL__N_125multi_tensor_apply_kernelINS1_18TensorListMetadataILi1EEENS1_27BinaryOpScalarTensorFunctorIfLi1ELi1ELi0EEEJSt7dividesIfEPffEEEvT_T0_DpT1_
    .private_segment_fixed_size: 0
    .sgpr_count:     35
    .sgpr_spill_count: 0
    .symbol:         _ZN2at6native12_GLOBAL__N_125multi_tensor_apply_kernelINS1_18TensorListMetadataILi1EEENS1_27BinaryOpScalarTensorFunctorIfLi1ELi1ELi0EEEJSt7dividesIfEPffEEEvT_T0_DpT1_.kd
    .uniform_work_group_size: 1
    .uses_dynamic_stack: false
    .vgpr_count:     32
    .vgpr_spill_count: 0
    .wavefront_size: 64
  - .agpr_count:     0
    .args:
      - .offset:         0
        .size:           3368
        .value_kind:     by_value
      - .offset:         3368
        .size:           1
        .value_kind:     by_value
      - .offset:         3369
        .size:           1
        .value_kind:     by_value
      - .address_space:  global
        .offset:         3376
        .size:           8
        .value_kind:     global_buffer
      - .offset:         3392
        .size:           16
        .value_kind:     by_value
      - .offset:         3408
        .size:           4
        .value_kind:     hidden_block_count_x
      - .offset:         3412
        .size:           4
        .value_kind:     hidden_block_count_y
      - .offset:         3416
        .size:           4
        .value_kind:     hidden_block_count_z
      - .offset:         3420
        .size:           2
        .value_kind:     hidden_group_size_x
      - .offset:         3422
        .size:           2
        .value_kind:     hidden_group_size_y
      - .offset:         3424
        .size:           2
        .value_kind:     hidden_group_size_z
      - .offset:         3426
        .size:           2
        .value_kind:     hidden_remainder_x
      - .offset:         3428
        .size:           2
        .value_kind:     hidden_remainder_y
      - .offset:         3430
        .size:           2
        .value_kind:     hidden_remainder_z
      - .offset:         3448
        .size:           8
        .value_kind:     hidden_global_offset_x
      - .offset:         3456
        .size:           8
        .value_kind:     hidden_global_offset_y
      - .offset:         3464
        .size:           8
        .value_kind:     hidden_global_offset_z
      - .offset:         3472
        .size:           2
        .value_kind:     hidden_grid_dims
    .group_segment_fixed_size: 0
    .kernarg_segment_align: 16
    .kernarg_segment_size: 3664
    .language:       OpenCL C
    .language_version:
      - 2
      - 0
    .max_flat_workgroup_size: 512
    .name:           _ZN2at6native12_GLOBAL__N_125multi_tensor_apply_kernelINS1_18TensorListMetadataILi1EEENS1_27BinaryOpScalarTensorFunctorIN3c107complexIdEELi1ELi1ELi0EEEJSt7dividesIS8_EPS8_S8_EEEvT_T0_DpT1_
    .private_segment_fixed_size: 0
    .sgpr_count:     45
    .sgpr_spill_count: 0
    .symbol:         _ZN2at6native12_GLOBAL__N_125multi_tensor_apply_kernelINS1_18TensorListMetadataILi1EEENS1_27BinaryOpScalarTensorFunctorIN3c107complexIdEELi1ELi1ELi0EEEJSt7dividesIS8_EPS8_S8_EEEvT_T0_DpT1_.kd
    .uniform_work_group_size: 1
    .uses_dynamic_stack: false
    .vgpr_count:     56
    .vgpr_spill_count: 0
    .wavefront_size: 64
  - .agpr_count:     0
    .args:
      - .offset:         0
        .size:           3368
        .value_kind:     by_value
      - .offset:         3368
        .size:           1
        .value_kind:     by_value
      - .offset:         3369
        .size:           1
        .value_kind:     by_value
      - .address_space:  global
        .offset:         3376
        .size:           8
        .value_kind:     global_buffer
      - .offset:         3384
        .size:           8
        .value_kind:     by_value
      - .offset:         3392
        .size:           4
        .value_kind:     hidden_block_count_x
      - .offset:         3396
        .size:           4
        .value_kind:     hidden_block_count_y
      - .offset:         3400
        .size:           4
        .value_kind:     hidden_block_count_z
      - .offset:         3404
        .size:           2
        .value_kind:     hidden_group_size_x
      - .offset:         3406
        .size:           2
        .value_kind:     hidden_group_size_y
      - .offset:         3408
        .size:           2
        .value_kind:     hidden_group_size_z
      - .offset:         3410
        .size:           2
        .value_kind:     hidden_remainder_x
      - .offset:         3412
        .size:           2
        .value_kind:     hidden_remainder_y
      - .offset:         3414
        .size:           2
        .value_kind:     hidden_remainder_z
      - .offset:         3432
        .size:           8
        .value_kind:     hidden_global_offset_x
      - .offset:         3440
        .size:           8
        .value_kind:     hidden_global_offset_y
      - .offset:         3448
        .size:           8
        .value_kind:     hidden_global_offset_z
      - .offset:         3456
        .size:           2
        .value_kind:     hidden_grid_dims
    .group_segment_fixed_size: 0
    .kernarg_segment_align: 8
    .kernarg_segment_size: 3648
    .language:       OpenCL C
    .language_version:
      - 2
      - 0
    .max_flat_workgroup_size: 512
    .name:           _ZN2at6native12_GLOBAL__N_125multi_tensor_apply_kernelINS1_18TensorListMetadataILi1EEENS1_27BinaryOpScalarTensorFunctorIN3c107complexIfEELi1ELi1ELi0EEEJSt7dividesIS8_EPS8_S8_EEEvT_T0_DpT1_
    .private_segment_fixed_size: 0
    .sgpr_count:     50
    .sgpr_spill_count: 0
    .symbol:         _ZN2at6native12_GLOBAL__N_125multi_tensor_apply_kernelINS1_18TensorListMetadataILi1EEENS1_27BinaryOpScalarTensorFunctorIN3c107complexIfEELi1ELi1ELi0EEEJSt7dividesIS8_EPS8_S8_EEEvT_T0_DpT1_.kd
    .uniform_work_group_size: 1
    .uses_dynamic_stack: false
    .vgpr_count:     34
    .vgpr_spill_count: 0
    .wavefront_size: 64
  - .agpr_count:     0
    .args:
      - .offset:         0
        .size:           3368
        .value_kind:     by_value
      - .offset:         3368
        .size:           1
        .value_kind:     by_value
      - .offset:         3369
        .size:           1
        .value_kind:     by_value
      - .address_space:  global
        .offset:         3376
        .size:           8
        .value_kind:     global_buffer
      - .offset:         3384
        .size:           1
        .value_kind:     by_value
      - .offset:         3392
        .size:           4
        .value_kind:     hidden_block_count_x
      - .offset:         3396
        .size:           4
        .value_kind:     hidden_block_count_y
      - .offset:         3400
        .size:           4
        .value_kind:     hidden_block_count_z
      - .offset:         3404
        .size:           2
        .value_kind:     hidden_group_size_x
      - .offset:         3406
        .size:           2
        .value_kind:     hidden_group_size_y
      - .offset:         3408
        .size:           2
        .value_kind:     hidden_group_size_z
      - .offset:         3410
        .size:           2
        .value_kind:     hidden_remainder_x
      - .offset:         3412
        .size:           2
        .value_kind:     hidden_remainder_y
      - .offset:         3414
        .size:           2
        .value_kind:     hidden_remainder_z
      - .offset:         3432
        .size:           8
        .value_kind:     hidden_global_offset_x
      - .offset:         3440
        .size:           8
        .value_kind:     hidden_global_offset_y
      - .offset:         3448
        .size:           8
        .value_kind:     hidden_global_offset_z
      - .offset:         3456
        .size:           2
        .value_kind:     hidden_grid_dims
    .group_segment_fixed_size: 0
    .kernarg_segment_align: 8
    .kernarg_segment_size: 3648
    .language:       OpenCL C
    .language_version:
      - 2
      - 0
    .max_flat_workgroup_size: 512
    .name:           _ZN2at6native12_GLOBAL__N_125multi_tensor_apply_kernelINS1_18TensorListMetadataILi1EEENS1_27BinaryOpScalarTensorFunctorIbLi1ELi1ELi0EEEJSt7dividesIbEPbbEEEvT_T0_DpT1_
    .private_segment_fixed_size: 0
    .sgpr_count:     20
    .sgpr_spill_count: 0
    .symbol:         _ZN2at6native12_GLOBAL__N_125multi_tensor_apply_kernelINS1_18TensorListMetadataILi1EEENS1_27BinaryOpScalarTensorFunctorIbLi1ELi1ELi0EEEJSt7dividesIbEPbbEEEvT_T0_DpT1_.kd
    .uniform_work_group_size: 1
    .uses_dynamic_stack: false
    .vgpr_count:     26
    .vgpr_spill_count: 0
    .wavefront_size: 64
  - .agpr_count:     0
    .args:
      - .offset:         0
        .size:           3368
        .value_kind:     by_value
      - .offset:         3368
        .size:           1
        .value_kind:     by_value
      - .offset:         3369
        .size:           1
        .value_kind:     by_value
      - .address_space:  global
        .offset:         3376
        .size:           8
        .value_kind:     global_buffer
      - .offset:         3384
        .size:           4
        .value_kind:     by_value
      - .offset:         3392
        .size:           4
        .value_kind:     hidden_block_count_x
      - .offset:         3396
        .size:           4
        .value_kind:     hidden_block_count_y
      - .offset:         3400
        .size:           4
        .value_kind:     hidden_block_count_z
      - .offset:         3404
        .size:           2
        .value_kind:     hidden_group_size_x
      - .offset:         3406
        .size:           2
        .value_kind:     hidden_group_size_y
      - .offset:         3408
        .size:           2
        .value_kind:     hidden_group_size_z
      - .offset:         3410
        .size:           2
        .value_kind:     hidden_remainder_x
      - .offset:         3412
        .size:           2
        .value_kind:     hidden_remainder_y
      - .offset:         3414
        .size:           2
        .value_kind:     hidden_remainder_z
      - .offset:         3432
        .size:           8
        .value_kind:     hidden_global_offset_x
      - .offset:         3440
        .size:           8
        .value_kind:     hidden_global_offset_y
      - .offset:         3448
        .size:           8
        .value_kind:     hidden_global_offset_z
      - .offset:         3456
        .size:           2
        .value_kind:     hidden_grid_dims
    .group_segment_fixed_size: 0
    .kernarg_segment_align: 8
    .kernarg_segment_size: 3648
    .language:       OpenCL C
    .language_version:
      - 2
      - 0
    .max_flat_workgroup_size: 512
    .name:           _ZN2at6native12_GLOBAL__N_125multi_tensor_apply_kernelINS1_18TensorListMetadataILi1EEENS1_27BinaryOpScalarTensorFunctorIN3c104HalfELi1ELi1ELi0EEEJSt7dividesIfEPS7_fEEEvT_T0_DpT1_
    .private_segment_fixed_size: 0
    .sgpr_count:     34
    .sgpr_spill_count: 0
    .symbol:         _ZN2at6native12_GLOBAL__N_125multi_tensor_apply_kernelINS1_18TensorListMetadataILi1EEENS1_27BinaryOpScalarTensorFunctorIN3c104HalfELi1ELi1ELi0EEEJSt7dividesIfEPS7_fEEEvT_T0_DpT1_.kd
    .uniform_work_group_size: 1
    .uses_dynamic_stack: false
    .vgpr_count:     32
    .vgpr_spill_count: 0
    .wavefront_size: 64
  - .agpr_count:     0
    .args:
      - .offset:         0
        .size:           3368
        .value_kind:     by_value
      - .offset:         3368
        .size:           1
        .value_kind:     by_value
      - .offset:         3369
        .size:           1
        .value_kind:     by_value
      - .address_space:  global
        .offset:         3376
        .size:           8
        .value_kind:     global_buffer
      - .offset:         3384
        .size:           4
        .value_kind:     by_value
      - .offset:         3392
        .size:           4
        .value_kind:     hidden_block_count_x
      - .offset:         3396
        .size:           4
        .value_kind:     hidden_block_count_y
      - .offset:         3400
        .size:           4
        .value_kind:     hidden_block_count_z
      - .offset:         3404
        .size:           2
        .value_kind:     hidden_group_size_x
      - .offset:         3406
        .size:           2
        .value_kind:     hidden_group_size_y
      - .offset:         3408
        .size:           2
        .value_kind:     hidden_group_size_z
      - .offset:         3410
        .size:           2
        .value_kind:     hidden_remainder_x
      - .offset:         3412
        .size:           2
        .value_kind:     hidden_remainder_y
      - .offset:         3414
        .size:           2
        .value_kind:     hidden_remainder_z
      - .offset:         3432
        .size:           8
        .value_kind:     hidden_global_offset_x
      - .offset:         3440
        .size:           8
        .value_kind:     hidden_global_offset_y
      - .offset:         3448
        .size:           8
        .value_kind:     hidden_global_offset_z
      - .offset:         3456
        .size:           2
        .value_kind:     hidden_grid_dims
    .group_segment_fixed_size: 0
    .kernarg_segment_align: 8
    .kernarg_segment_size: 3648
    .language:       OpenCL C
    .language_version:
      - 2
      - 0
    .max_flat_workgroup_size: 512
    .name:           _ZN2at6native12_GLOBAL__N_125multi_tensor_apply_kernelINS1_18TensorListMetadataILi1EEENS1_27BinaryOpScalarTensorFunctorIN3c108BFloat16ELi1ELi1ELi0EEEJSt7dividesIfEPS7_fEEEvT_T0_DpT1_
    .private_segment_fixed_size: 0
    .sgpr_count:     36
    .sgpr_spill_count: 0
    .symbol:         _ZN2at6native12_GLOBAL__N_125multi_tensor_apply_kernelINS1_18TensorListMetadataILi1EEENS1_27BinaryOpScalarTensorFunctorIN3c108BFloat16ELi1ELi1ELi0EEEJSt7dividesIfEPS7_fEEEvT_T0_DpT1_.kd
    .uniform_work_group_size: 1
    .uses_dynamic_stack: false
    .vgpr_count:     34
    .vgpr_spill_count: 0
    .wavefront_size: 64
  - .agpr_count:     0
    .args:
      - .offset:         0
        .size:           3144
        .value_kind:     by_value
      - .offset:         3144
        .size:           1
        .value_kind:     by_value
      - .offset:         3145
        .size:           1
        .value_kind:     by_value
      - .address_space:  global
        .offset:         3152
        .size:           8
        .value_kind:     global_buffer
      - .offset:         3160
        .size:           1
        .value_kind:     by_value
      - .offset:         3168
        .size:           4
        .value_kind:     hidden_block_count_x
      - .offset:         3172
        .size:           4
        .value_kind:     hidden_block_count_y
      - .offset:         3176
        .size:           4
        .value_kind:     hidden_block_count_z
      - .offset:         3180
        .size:           2
        .value_kind:     hidden_group_size_x
      - .offset:         3182
        .size:           2
        .value_kind:     hidden_group_size_y
      - .offset:         3184
        .size:           2
        .value_kind:     hidden_group_size_z
      - .offset:         3186
        .size:           2
        .value_kind:     hidden_remainder_x
      - .offset:         3188
        .size:           2
        .value_kind:     hidden_remainder_y
      - .offset:         3190
        .size:           2
        .value_kind:     hidden_remainder_z
      - .offset:         3208
        .size:           8
        .value_kind:     hidden_global_offset_x
      - .offset:         3216
        .size:           8
        .value_kind:     hidden_global_offset_y
      - .offset:         3224
        .size:           8
        .value_kind:     hidden_global_offset_z
      - .offset:         3232
        .size:           2
        .value_kind:     hidden_grid_dims
    .group_segment_fixed_size: 0
    .kernarg_segment_align: 8
    .kernarg_segment_size: 3424
    .language:       OpenCL C
    .language_version:
      - 2
      - 0
    .max_flat_workgroup_size: 512
    .name:           _ZN2at6native12_GLOBAL__N_125multi_tensor_apply_kernelINS1_18TensorListMetadataILi2EEENS1_27BinaryOpScalarTensorFunctorIhLi2ELi1ELi1EEEJSt7dividesIhEPhhEEEvT_T0_DpT1_
    .private_segment_fixed_size: 0
    .sgpr_count:     33
    .sgpr_spill_count: 0
    .symbol:         _ZN2at6native12_GLOBAL__N_125multi_tensor_apply_kernelINS1_18TensorListMetadataILi2EEENS1_27BinaryOpScalarTensorFunctorIhLi2ELi1ELi1EEEJSt7dividesIhEPhhEEEvT_T0_DpT1_.kd
    .uniform_work_group_size: 1
    .uses_dynamic_stack: false
    .vgpr_count:     36
    .vgpr_spill_count: 0
    .wavefront_size: 64
  - .agpr_count:     0
    .args:
      - .offset:         0
        .size:           3144
        .value_kind:     by_value
      - .offset:         3144
        .size:           1
        .value_kind:     by_value
      - .offset:         3145
        .size:           1
        .value_kind:     by_value
      - .address_space:  global
        .offset:         3152
        .size:           8
        .value_kind:     global_buffer
      - .offset:         3160
        .size:           1
        .value_kind:     by_value
      - .offset:         3168
        .size:           4
        .value_kind:     hidden_block_count_x
      - .offset:         3172
        .size:           4
        .value_kind:     hidden_block_count_y
      - .offset:         3176
        .size:           4
        .value_kind:     hidden_block_count_z
      - .offset:         3180
        .size:           2
        .value_kind:     hidden_group_size_x
      - .offset:         3182
        .size:           2
        .value_kind:     hidden_group_size_y
      - .offset:         3184
        .size:           2
        .value_kind:     hidden_group_size_z
      - .offset:         3186
        .size:           2
        .value_kind:     hidden_remainder_x
      - .offset:         3188
        .size:           2
        .value_kind:     hidden_remainder_y
      - .offset:         3190
        .size:           2
        .value_kind:     hidden_remainder_z
      - .offset:         3208
        .size:           8
        .value_kind:     hidden_global_offset_x
      - .offset:         3216
        .size:           8
        .value_kind:     hidden_global_offset_y
      - .offset:         3224
        .size:           8
        .value_kind:     hidden_global_offset_z
      - .offset:         3232
        .size:           2
        .value_kind:     hidden_grid_dims
    .group_segment_fixed_size: 0
    .kernarg_segment_align: 8
    .kernarg_segment_size: 3424
    .language:       OpenCL C
    .language_version:
      - 2
      - 0
    .max_flat_workgroup_size: 512
    .name:           _ZN2at6native12_GLOBAL__N_125multi_tensor_apply_kernelINS1_18TensorListMetadataILi2EEENS1_27BinaryOpScalarTensorFunctorIaLi2ELi1ELi1EEEJSt7dividesIaEPaaEEEvT_T0_DpT1_
    .private_segment_fixed_size: 0
    .sgpr_count:     29
    .sgpr_spill_count: 0
    .symbol:         _ZN2at6native12_GLOBAL__N_125multi_tensor_apply_kernelINS1_18TensorListMetadataILi2EEENS1_27BinaryOpScalarTensorFunctorIaLi2ELi1ELi1EEEJSt7dividesIaEPaaEEEvT_T0_DpT1_.kd
    .uniform_work_group_size: 1
    .uses_dynamic_stack: false
    .vgpr_count:     38
    .vgpr_spill_count: 0
    .wavefront_size: 64
  - .agpr_count:     0
    .args:
      - .offset:         0
        .size:           3144
        .value_kind:     by_value
      - .offset:         3144
        .size:           1
        .value_kind:     by_value
      - .offset:         3145
        .size:           1
        .value_kind:     by_value
      - .address_space:  global
        .offset:         3152
        .size:           8
        .value_kind:     global_buffer
      - .offset:         3160
        .size:           4
        .value_kind:     by_value
      - .offset:         3168
        .size:           4
        .value_kind:     hidden_block_count_x
      - .offset:         3172
        .size:           4
        .value_kind:     hidden_block_count_y
      - .offset:         3176
        .size:           4
        .value_kind:     hidden_block_count_z
      - .offset:         3180
        .size:           2
        .value_kind:     hidden_group_size_x
      - .offset:         3182
        .size:           2
        .value_kind:     hidden_group_size_y
      - .offset:         3184
        .size:           2
        .value_kind:     hidden_group_size_z
      - .offset:         3186
        .size:           2
        .value_kind:     hidden_remainder_x
      - .offset:         3188
        .size:           2
        .value_kind:     hidden_remainder_y
      - .offset:         3190
        .size:           2
        .value_kind:     hidden_remainder_z
      - .offset:         3208
        .size:           8
        .value_kind:     hidden_global_offset_x
      - .offset:         3216
        .size:           8
        .value_kind:     hidden_global_offset_y
      - .offset:         3224
        .size:           8
        .value_kind:     hidden_global_offset_z
      - .offset:         3232
        .size:           2
        .value_kind:     hidden_grid_dims
    .group_segment_fixed_size: 0
    .kernarg_segment_align: 8
    .kernarg_segment_size: 3424
    .language:       OpenCL C
    .language_version:
      - 2
      - 0
    .max_flat_workgroup_size: 512
    .name:           _ZN2at6native12_GLOBAL__N_125multi_tensor_apply_kernelINS1_18TensorListMetadataILi2EEENS1_27BinaryOpScalarTensorFunctorIiLi2ELi1ELi1EEEJSt7dividesIiEPiiEEEvT_T0_DpT1_
    .private_segment_fixed_size: 0
    .sgpr_count:     32
    .sgpr_spill_count: 0
    .symbol:         _ZN2at6native12_GLOBAL__N_125multi_tensor_apply_kernelINS1_18TensorListMetadataILi2EEENS1_27BinaryOpScalarTensorFunctorIiLi2ELi1ELi1EEEJSt7dividesIiEPiiEEEvT_T0_DpT1_.kd
    .uniform_work_group_size: 1
    .uses_dynamic_stack: false
    .vgpr_count:     34
    .vgpr_spill_count: 0
    .wavefront_size: 64
  - .agpr_count:     0
    .args:
      - .offset:         0
        .size:           3144
        .value_kind:     by_value
      - .offset:         3144
        .size:           1
        .value_kind:     by_value
      - .offset:         3145
        .size:           1
        .value_kind:     by_value
      - .address_space:  global
        .offset:         3152
        .size:           8
        .value_kind:     global_buffer
      - .offset:         3160
        .size:           8
        .value_kind:     by_value
      - .offset:         3168
        .size:           4
        .value_kind:     hidden_block_count_x
      - .offset:         3172
        .size:           4
        .value_kind:     hidden_block_count_y
      - .offset:         3176
        .size:           4
        .value_kind:     hidden_block_count_z
      - .offset:         3180
        .size:           2
        .value_kind:     hidden_group_size_x
      - .offset:         3182
        .size:           2
        .value_kind:     hidden_group_size_y
      - .offset:         3184
        .size:           2
        .value_kind:     hidden_group_size_z
      - .offset:         3186
        .size:           2
        .value_kind:     hidden_remainder_x
      - .offset:         3188
        .size:           2
        .value_kind:     hidden_remainder_y
      - .offset:         3190
        .size:           2
        .value_kind:     hidden_remainder_z
      - .offset:         3208
        .size:           8
        .value_kind:     hidden_global_offset_x
      - .offset:         3216
        .size:           8
        .value_kind:     hidden_global_offset_y
      - .offset:         3224
        .size:           8
        .value_kind:     hidden_global_offset_z
      - .offset:         3232
        .size:           2
        .value_kind:     hidden_grid_dims
    .group_segment_fixed_size: 0
    .kernarg_segment_align: 8
    .kernarg_segment_size: 3424
    .language:       OpenCL C
    .language_version:
      - 2
      - 0
    .max_flat_workgroup_size: 512
    .name:           _ZN2at6native12_GLOBAL__N_125multi_tensor_apply_kernelINS1_18TensorListMetadataILi2EEENS1_27BinaryOpScalarTensorFunctorIlLi2ELi1ELi1EEEJSt7dividesIlEPllEEEvT_T0_DpT1_
    .private_segment_fixed_size: 0
    .sgpr_count:     42
    .sgpr_spill_count: 0
    .symbol:         _ZN2at6native12_GLOBAL__N_125multi_tensor_apply_kernelINS1_18TensorListMetadataILi2EEENS1_27BinaryOpScalarTensorFunctorIlLi2ELi1ELi1EEEJSt7dividesIlEPllEEEvT_T0_DpT1_.kd
    .uniform_work_group_size: 1
    .uses_dynamic_stack: false
    .vgpr_count:     41
    .vgpr_spill_count: 0
    .wavefront_size: 64
  - .agpr_count:     0
    .args:
      - .offset:         0
        .size:           3144
        .value_kind:     by_value
      - .offset:         3144
        .size:           1
        .value_kind:     by_value
      - .offset:         3145
        .size:           1
        .value_kind:     by_value
      - .address_space:  global
        .offset:         3152
        .size:           8
        .value_kind:     global_buffer
      - .offset:         3160
        .size:           2
        .value_kind:     by_value
      - .offset:         3168
        .size:           4
        .value_kind:     hidden_block_count_x
      - .offset:         3172
        .size:           4
        .value_kind:     hidden_block_count_y
      - .offset:         3176
        .size:           4
        .value_kind:     hidden_block_count_z
      - .offset:         3180
        .size:           2
        .value_kind:     hidden_group_size_x
      - .offset:         3182
        .size:           2
        .value_kind:     hidden_group_size_y
      - .offset:         3184
        .size:           2
        .value_kind:     hidden_group_size_z
      - .offset:         3186
        .size:           2
        .value_kind:     hidden_remainder_x
      - .offset:         3188
        .size:           2
        .value_kind:     hidden_remainder_y
      - .offset:         3190
        .size:           2
        .value_kind:     hidden_remainder_z
      - .offset:         3208
        .size:           8
        .value_kind:     hidden_global_offset_x
      - .offset:         3216
        .size:           8
        .value_kind:     hidden_global_offset_y
      - .offset:         3224
        .size:           8
        .value_kind:     hidden_global_offset_z
      - .offset:         3232
        .size:           2
        .value_kind:     hidden_grid_dims
    .group_segment_fixed_size: 0
    .kernarg_segment_align: 8
    .kernarg_segment_size: 3424
    .language:       OpenCL C
    .language_version:
      - 2
      - 0
    .max_flat_workgroup_size: 512
    .name:           _ZN2at6native12_GLOBAL__N_125multi_tensor_apply_kernelINS1_18TensorListMetadataILi2EEENS1_27BinaryOpScalarTensorFunctorIsLi2ELi1ELi1EEEJSt7dividesIsEPssEEEvT_T0_DpT1_
    .private_segment_fixed_size: 0
    .sgpr_count:     30
    .sgpr_spill_count: 0
    .symbol:         _ZN2at6native12_GLOBAL__N_125multi_tensor_apply_kernelINS1_18TensorListMetadataILi2EEENS1_27BinaryOpScalarTensorFunctorIsLi2ELi1ELi1EEEJSt7dividesIsEPssEEEvT_T0_DpT1_.kd
    .uniform_work_group_size: 1
    .uses_dynamic_stack: false
    .vgpr_count:     36
    .vgpr_spill_count: 0
    .wavefront_size: 64
  - .agpr_count:     0
    .args:
      - .offset:         0
        .size:           3144
        .value_kind:     by_value
      - .offset:         3144
        .size:           1
        .value_kind:     by_value
      - .offset:         3145
        .size:           1
        .value_kind:     by_value
      - .address_space:  global
        .offset:         3152
        .size:           8
        .value_kind:     global_buffer
      - .offset:         3160
        .size:           8
        .value_kind:     by_value
      - .offset:         3168
        .size:           4
        .value_kind:     hidden_block_count_x
      - .offset:         3172
        .size:           4
        .value_kind:     hidden_block_count_y
      - .offset:         3176
        .size:           4
        .value_kind:     hidden_block_count_z
      - .offset:         3180
        .size:           2
        .value_kind:     hidden_group_size_x
      - .offset:         3182
        .size:           2
        .value_kind:     hidden_group_size_y
      - .offset:         3184
        .size:           2
        .value_kind:     hidden_group_size_z
      - .offset:         3186
        .size:           2
        .value_kind:     hidden_remainder_x
      - .offset:         3188
        .size:           2
        .value_kind:     hidden_remainder_y
      - .offset:         3190
        .size:           2
        .value_kind:     hidden_remainder_z
      - .offset:         3208
        .size:           8
        .value_kind:     hidden_global_offset_x
      - .offset:         3216
        .size:           8
        .value_kind:     hidden_global_offset_y
      - .offset:         3224
        .size:           8
        .value_kind:     hidden_global_offset_z
      - .offset:         3232
        .size:           2
        .value_kind:     hidden_grid_dims
    .group_segment_fixed_size: 0
    .kernarg_segment_align: 8
    .kernarg_segment_size: 3424
    .language:       OpenCL C
    .language_version:
      - 2
      - 0
    .max_flat_workgroup_size: 512
    .name:           _ZN2at6native12_GLOBAL__N_125multi_tensor_apply_kernelINS1_18TensorListMetadataILi2EEENS1_27BinaryOpScalarTensorFunctorIdLi2ELi1ELi1EEEJSt7dividesIdEPddEEEvT_T0_DpT1_
    .private_segment_fixed_size: 0
    .sgpr_count:     36
    .sgpr_spill_count: 0
    .symbol:         _ZN2at6native12_GLOBAL__N_125multi_tensor_apply_kernelINS1_18TensorListMetadataILi2EEENS1_27BinaryOpScalarTensorFunctorIdLi2ELi1ELi1EEEJSt7dividesIdEPddEEEvT_T0_DpT1_.kd
    .uniform_work_group_size: 1
    .uses_dynamic_stack: false
    .vgpr_count:     52
    .vgpr_spill_count: 0
    .wavefront_size: 64
  - .agpr_count:     0
    .args:
      - .offset:         0
        .size:           3144
        .value_kind:     by_value
      - .offset:         3144
        .size:           1
        .value_kind:     by_value
      - .offset:         3145
        .size:           1
        .value_kind:     by_value
      - .address_space:  global
        .offset:         3152
        .size:           8
        .value_kind:     global_buffer
      - .offset:         3160
        .size:           4
        .value_kind:     by_value
      - .offset:         3168
        .size:           4
        .value_kind:     hidden_block_count_x
      - .offset:         3172
        .size:           4
        .value_kind:     hidden_block_count_y
      - .offset:         3176
        .size:           4
        .value_kind:     hidden_block_count_z
      - .offset:         3180
        .size:           2
        .value_kind:     hidden_group_size_x
      - .offset:         3182
        .size:           2
        .value_kind:     hidden_group_size_y
      - .offset:         3184
        .size:           2
        .value_kind:     hidden_group_size_z
      - .offset:         3186
        .size:           2
        .value_kind:     hidden_remainder_x
      - .offset:         3188
        .size:           2
        .value_kind:     hidden_remainder_y
      - .offset:         3190
        .size:           2
        .value_kind:     hidden_remainder_z
      - .offset:         3208
        .size:           8
        .value_kind:     hidden_global_offset_x
      - .offset:         3216
        .size:           8
        .value_kind:     hidden_global_offset_y
      - .offset:         3224
        .size:           8
        .value_kind:     hidden_global_offset_z
      - .offset:         3232
        .size:           2
        .value_kind:     hidden_grid_dims
    .group_segment_fixed_size: 0
    .kernarg_segment_align: 8
    .kernarg_segment_size: 3424
    .language:       OpenCL C
    .language_version:
      - 2
      - 0
    .max_flat_workgroup_size: 512
    .name:           _ZN2at6native12_GLOBAL__N_125multi_tensor_apply_kernelINS1_18TensorListMetadataILi2EEENS1_27BinaryOpScalarTensorFunctorIfLi2ELi1ELi1EEEJSt7dividesIfEPffEEEvT_T0_DpT1_
    .private_segment_fixed_size: 0
    .sgpr_count:     31
    .sgpr_spill_count: 0
    .symbol:         _ZN2at6native12_GLOBAL__N_125multi_tensor_apply_kernelINS1_18TensorListMetadataILi2EEENS1_27BinaryOpScalarTensorFunctorIfLi2ELi1ELi1EEEJSt7dividesIfEPffEEEvT_T0_DpT1_.kd
    .uniform_work_group_size: 1
    .uses_dynamic_stack: false
    .vgpr_count:     37
    .vgpr_spill_count: 0
    .wavefront_size: 64
  - .agpr_count:     0
    .args:
      - .offset:         0
        .size:           3144
        .value_kind:     by_value
      - .offset:         3144
        .size:           1
        .value_kind:     by_value
      - .offset:         3145
        .size:           1
        .value_kind:     by_value
      - .address_space:  global
        .offset:         3152
        .size:           8
        .value_kind:     global_buffer
      - .offset:         3168
        .size:           16
        .value_kind:     by_value
      - .offset:         3184
        .size:           4
        .value_kind:     hidden_block_count_x
      - .offset:         3188
        .size:           4
        .value_kind:     hidden_block_count_y
      - .offset:         3192
        .size:           4
        .value_kind:     hidden_block_count_z
      - .offset:         3196
        .size:           2
        .value_kind:     hidden_group_size_x
      - .offset:         3198
        .size:           2
        .value_kind:     hidden_group_size_y
      - .offset:         3200
        .size:           2
        .value_kind:     hidden_group_size_z
      - .offset:         3202
        .size:           2
        .value_kind:     hidden_remainder_x
      - .offset:         3204
        .size:           2
        .value_kind:     hidden_remainder_y
      - .offset:         3206
        .size:           2
        .value_kind:     hidden_remainder_z
      - .offset:         3224
        .size:           8
        .value_kind:     hidden_global_offset_x
      - .offset:         3232
        .size:           8
        .value_kind:     hidden_global_offset_y
      - .offset:         3240
        .size:           8
        .value_kind:     hidden_global_offset_z
      - .offset:         3248
        .size:           2
        .value_kind:     hidden_grid_dims
    .group_segment_fixed_size: 0
    .kernarg_segment_align: 16
    .kernarg_segment_size: 3440
    .language:       OpenCL C
    .language_version:
      - 2
      - 0
    .max_flat_workgroup_size: 512
    .name:           _ZN2at6native12_GLOBAL__N_125multi_tensor_apply_kernelINS1_18TensorListMetadataILi2EEENS1_27BinaryOpScalarTensorFunctorIN3c107complexIdEELi2ELi1ELi1EEEJSt7dividesIS8_EPS8_S8_EEEvT_T0_DpT1_
    .private_segment_fixed_size: 0
    .sgpr_count:     47
    .sgpr_spill_count: 0
    .symbol:         _ZN2at6native12_GLOBAL__N_125multi_tensor_apply_kernelINS1_18TensorListMetadataILi2EEENS1_27BinaryOpScalarTensorFunctorIN3c107complexIdEELi2ELi1ELi1EEEJSt7dividesIS8_EPS8_S8_EEEvT_T0_DpT1_.kd
    .uniform_work_group_size: 1
    .uses_dynamic_stack: false
    .vgpr_count:     62
    .vgpr_spill_count: 0
    .wavefront_size: 64
  - .agpr_count:     0
    .args:
      - .offset:         0
        .size:           3144
        .value_kind:     by_value
      - .offset:         3144
        .size:           1
        .value_kind:     by_value
      - .offset:         3145
        .size:           1
        .value_kind:     by_value
      - .address_space:  global
        .offset:         3152
        .size:           8
        .value_kind:     global_buffer
      - .offset:         3160
        .size:           8
        .value_kind:     by_value
      - .offset:         3168
        .size:           4
        .value_kind:     hidden_block_count_x
      - .offset:         3172
        .size:           4
        .value_kind:     hidden_block_count_y
      - .offset:         3176
        .size:           4
        .value_kind:     hidden_block_count_z
      - .offset:         3180
        .size:           2
        .value_kind:     hidden_group_size_x
      - .offset:         3182
        .size:           2
        .value_kind:     hidden_group_size_y
      - .offset:         3184
        .size:           2
        .value_kind:     hidden_group_size_z
      - .offset:         3186
        .size:           2
        .value_kind:     hidden_remainder_x
      - .offset:         3188
        .size:           2
        .value_kind:     hidden_remainder_y
      - .offset:         3190
        .size:           2
        .value_kind:     hidden_remainder_z
      - .offset:         3208
        .size:           8
        .value_kind:     hidden_global_offset_x
      - .offset:         3216
        .size:           8
        .value_kind:     hidden_global_offset_y
      - .offset:         3224
        .size:           8
        .value_kind:     hidden_global_offset_z
      - .offset:         3232
        .size:           2
        .value_kind:     hidden_grid_dims
    .group_segment_fixed_size: 0
    .kernarg_segment_align: 8
    .kernarg_segment_size: 3424
    .language:       OpenCL C
    .language_version:
      - 2
      - 0
    .max_flat_workgroup_size: 512
    .name:           _ZN2at6native12_GLOBAL__N_125multi_tensor_apply_kernelINS1_18TensorListMetadataILi2EEENS1_27BinaryOpScalarTensorFunctorIN3c107complexIfEELi2ELi1ELi1EEEJSt7dividesIS8_EPS8_S8_EEEvT_T0_DpT1_
    .private_segment_fixed_size: 0
    .sgpr_count:     48
    .sgpr_spill_count: 0
    .symbol:         _ZN2at6native12_GLOBAL__N_125multi_tensor_apply_kernelINS1_18TensorListMetadataILi2EEENS1_27BinaryOpScalarTensorFunctorIN3c107complexIfEELi2ELi1ELi1EEEJSt7dividesIS8_EPS8_S8_EEEvT_T0_DpT1_.kd
    .uniform_work_group_size: 1
    .uses_dynamic_stack: false
    .vgpr_count:     46
    .vgpr_spill_count: 0
    .wavefront_size: 64
  - .agpr_count:     0
    .args:
      - .offset:         0
        .size:           3144
        .value_kind:     by_value
      - .offset:         3144
        .size:           1
        .value_kind:     by_value
      - .offset:         3145
        .size:           1
        .value_kind:     by_value
      - .address_space:  global
        .offset:         3152
        .size:           8
        .value_kind:     global_buffer
      - .offset:         3160
        .size:           1
        .value_kind:     by_value
      - .offset:         3168
        .size:           4
        .value_kind:     hidden_block_count_x
      - .offset:         3172
        .size:           4
        .value_kind:     hidden_block_count_y
      - .offset:         3176
        .size:           4
        .value_kind:     hidden_block_count_z
      - .offset:         3180
        .size:           2
        .value_kind:     hidden_group_size_x
      - .offset:         3182
        .size:           2
        .value_kind:     hidden_group_size_y
      - .offset:         3184
        .size:           2
        .value_kind:     hidden_group_size_z
      - .offset:         3186
        .size:           2
        .value_kind:     hidden_remainder_x
      - .offset:         3188
        .size:           2
        .value_kind:     hidden_remainder_y
      - .offset:         3190
        .size:           2
        .value_kind:     hidden_remainder_z
      - .offset:         3208
        .size:           8
        .value_kind:     hidden_global_offset_x
      - .offset:         3216
        .size:           8
        .value_kind:     hidden_global_offset_y
      - .offset:         3224
        .size:           8
        .value_kind:     hidden_global_offset_z
      - .offset:         3232
        .size:           2
        .value_kind:     hidden_grid_dims
    .group_segment_fixed_size: 0
    .kernarg_segment_align: 8
    .kernarg_segment_size: 3424
    .language:       OpenCL C
    .language_version:
      - 2
      - 0
    .max_flat_workgroup_size: 512
    .name:           _ZN2at6native12_GLOBAL__N_125multi_tensor_apply_kernelINS1_18TensorListMetadataILi2EEENS1_27BinaryOpScalarTensorFunctorIbLi2ELi1ELi1EEEJSt7dividesIbEPbbEEEvT_T0_DpT1_
    .private_segment_fixed_size: 0
    .sgpr_count:     25
    .sgpr_spill_count: 0
    .symbol:         _ZN2at6native12_GLOBAL__N_125multi_tensor_apply_kernelINS1_18TensorListMetadataILi2EEENS1_27BinaryOpScalarTensorFunctorIbLi2ELi1ELi1EEEJSt7dividesIbEPbbEEEvT_T0_DpT1_.kd
    .uniform_work_group_size: 1
    .uses_dynamic_stack: false
    .vgpr_count:     32
    .vgpr_spill_count: 0
    .wavefront_size: 64
  - .agpr_count:     0
    .args:
      - .offset:         0
        .size:           3144
        .value_kind:     by_value
      - .offset:         3144
        .size:           1
        .value_kind:     by_value
      - .offset:         3145
        .size:           1
        .value_kind:     by_value
      - .address_space:  global
        .offset:         3152
        .size:           8
        .value_kind:     global_buffer
      - .offset:         3160
        .size:           4
        .value_kind:     by_value
      - .offset:         3168
        .size:           4
        .value_kind:     hidden_block_count_x
      - .offset:         3172
        .size:           4
        .value_kind:     hidden_block_count_y
      - .offset:         3176
        .size:           4
        .value_kind:     hidden_block_count_z
      - .offset:         3180
        .size:           2
        .value_kind:     hidden_group_size_x
      - .offset:         3182
        .size:           2
        .value_kind:     hidden_group_size_y
      - .offset:         3184
        .size:           2
        .value_kind:     hidden_group_size_z
      - .offset:         3186
        .size:           2
        .value_kind:     hidden_remainder_x
      - .offset:         3188
        .size:           2
        .value_kind:     hidden_remainder_y
      - .offset:         3190
        .size:           2
        .value_kind:     hidden_remainder_z
      - .offset:         3208
        .size:           8
        .value_kind:     hidden_global_offset_x
      - .offset:         3216
        .size:           8
        .value_kind:     hidden_global_offset_y
      - .offset:         3224
        .size:           8
        .value_kind:     hidden_global_offset_z
      - .offset:         3232
        .size:           2
        .value_kind:     hidden_grid_dims
    .group_segment_fixed_size: 0
    .kernarg_segment_align: 8
    .kernarg_segment_size: 3424
    .language:       OpenCL C
    .language_version:
      - 2
      - 0
    .max_flat_workgroup_size: 512
    .name:           _ZN2at6native12_GLOBAL__N_125multi_tensor_apply_kernelINS1_18TensorListMetadataILi2EEENS1_27BinaryOpScalarTensorFunctorIN3c104HalfELi2ELi1ELi1EEEJSt7dividesIfEPS7_fEEEvT_T0_DpT1_
    .private_segment_fixed_size: 0
    .sgpr_count:     40
    .sgpr_spill_count: 0
    .symbol:         _ZN2at6native12_GLOBAL__N_125multi_tensor_apply_kernelINS1_18TensorListMetadataILi2EEENS1_27BinaryOpScalarTensorFunctorIN3c104HalfELi2ELi1ELi1EEEJSt7dividesIfEPS7_fEEEvT_T0_DpT1_.kd
    .uniform_work_group_size: 1
    .uses_dynamic_stack: false
    .vgpr_count:     35
    .vgpr_spill_count: 0
    .wavefront_size: 64
  - .agpr_count:     0
    .args:
      - .offset:         0
        .size:           3144
        .value_kind:     by_value
      - .offset:         3144
        .size:           1
        .value_kind:     by_value
      - .offset:         3145
        .size:           1
        .value_kind:     by_value
      - .address_space:  global
        .offset:         3152
        .size:           8
        .value_kind:     global_buffer
      - .offset:         3160
        .size:           4
        .value_kind:     by_value
      - .offset:         3168
        .size:           4
        .value_kind:     hidden_block_count_x
      - .offset:         3172
        .size:           4
        .value_kind:     hidden_block_count_y
      - .offset:         3176
        .size:           4
        .value_kind:     hidden_block_count_z
      - .offset:         3180
        .size:           2
        .value_kind:     hidden_group_size_x
      - .offset:         3182
        .size:           2
        .value_kind:     hidden_group_size_y
      - .offset:         3184
        .size:           2
        .value_kind:     hidden_group_size_z
      - .offset:         3186
        .size:           2
        .value_kind:     hidden_remainder_x
      - .offset:         3188
        .size:           2
        .value_kind:     hidden_remainder_y
      - .offset:         3190
        .size:           2
        .value_kind:     hidden_remainder_z
      - .offset:         3208
        .size:           8
        .value_kind:     hidden_global_offset_x
      - .offset:         3216
        .size:           8
        .value_kind:     hidden_global_offset_y
      - .offset:         3224
        .size:           8
        .value_kind:     hidden_global_offset_z
      - .offset:         3232
        .size:           2
        .value_kind:     hidden_grid_dims
    .group_segment_fixed_size: 0
    .kernarg_segment_align: 8
    .kernarg_segment_size: 3424
    .language:       OpenCL C
    .language_version:
      - 2
      - 0
    .max_flat_workgroup_size: 512
    .name:           _ZN2at6native12_GLOBAL__N_125multi_tensor_apply_kernelINS1_18TensorListMetadataILi2EEENS1_27BinaryOpScalarTensorFunctorIN3c108BFloat16ELi2ELi1ELi1EEEJSt7dividesIfEPS7_fEEEvT_T0_DpT1_
    .private_segment_fixed_size: 0
    .sgpr_count:     32
    .sgpr_spill_count: 0
    .symbol:         _ZN2at6native12_GLOBAL__N_125multi_tensor_apply_kernelINS1_18TensorListMetadataILi2EEENS1_27BinaryOpScalarTensorFunctorIN3c108BFloat16ELi2ELi1ELi1EEEJSt7dividesIfEPS7_fEEEvT_T0_DpT1_.kd
    .uniform_work_group_size: 1
    .uses_dynamic_stack: false
    .vgpr_count:     38
    .vgpr_spill_count: 0
    .wavefront_size: 64
amdhsa.target:   amdgcn-amd-amdhsa--gfx90a
amdhsa.version:
  - 1
  - 2
...

	.end_amdgpu_metadata
